;; amdgpu-corpus repo=ROCm/rocFFT kind=compiled arch=gfx1201 opt=O3
	.text
	.amdgcn_target "amdgcn-amd-amdhsa--gfx1201"
	.amdhsa_code_object_version 6
	.protected	fft_rtc_back_len4050_factors_10_5_3_3_3_3_wgs_135_tpt_135_halfLds_sp_op_CI_CI_unitstride_sbrr_C2R_dirReg ; -- Begin function fft_rtc_back_len4050_factors_10_5_3_3_3_3_wgs_135_tpt_135_halfLds_sp_op_CI_CI_unitstride_sbrr_C2R_dirReg
	.globl	fft_rtc_back_len4050_factors_10_5_3_3_3_3_wgs_135_tpt_135_halfLds_sp_op_CI_CI_unitstride_sbrr_C2R_dirReg
	.p2align	8
	.type	fft_rtc_back_len4050_factors_10_5_3_3_3_3_wgs_135_tpt_135_halfLds_sp_op_CI_CI_unitstride_sbrr_C2R_dirReg,@function
fft_rtc_back_len4050_factors_10_5_3_3_3_3_wgs_135_tpt_135_halfLds_sp_op_CI_CI_unitstride_sbrr_C2R_dirReg: ; @fft_rtc_back_len4050_factors_10_5_3_3_3_3_wgs_135_tpt_135_halfLds_sp_op_CI_CI_unitstride_sbrr_C2R_dirReg
; %bb.0:
	s_clause 0x2
	s_load_b128 s[8:11], s[0:1], 0x0
	s_load_b128 s[4:7], s[0:1], 0x58
	;; [unrolled: 1-line block ×3, first 2 shown]
	v_mul_u32_u24_e32 v1, 0x1e6, v0
	v_mov_b32_e32 v3, 0
	s_delay_alu instid0(VALU_DEP_2) | instskip(NEXT) | instid1(VALU_DEP_1)
	v_lshrrev_b32_e32 v1, 16, v1
	v_add_nc_u32_e32 v5, ttmp9, v1
	v_mov_b32_e32 v1, 0
	v_mov_b32_e32 v2, 0
	;; [unrolled: 1-line block ×3, first 2 shown]
	s_wait_kmcnt 0x0
	v_cmp_lt_u64_e64 s2, s[10:11], 2
	s_delay_alu instid0(VALU_DEP_1)
	s_and_b32 vcc_lo, exec_lo, s2
	s_cbranch_vccnz .LBB0_8
; %bb.1:
	s_load_b64 s[2:3], s[0:1], 0x10
	v_mov_b32_e32 v1, 0
	v_mov_b32_e32 v2, 0
	s_add_nc_u64 s[16:17], s[14:15], 8
	s_add_nc_u64 s[18:19], s[12:13], 8
	s_mov_b64 s[20:21], 1
	s_delay_alu instid0(VALU_DEP_1)
	v_dual_mov_b32 v63, v2 :: v_dual_mov_b32 v62, v1
	s_wait_kmcnt 0x0
	s_add_nc_u64 s[22:23], s[2:3], 8
	s_mov_b32 s3, 0
.LBB0_2:                                ; =>This Inner Loop Header: Depth=1
	s_load_b64 s[24:25], s[22:23], 0x0
                                        ; implicit-def: $vgpr64_vgpr65
	s_mov_b32 s2, exec_lo
	s_wait_kmcnt 0x0
	v_or_b32_e32 v4, s25, v6
	s_delay_alu instid0(VALU_DEP_1)
	v_cmpx_ne_u64_e32 0, v[3:4]
	s_wait_alu 0xfffe
	s_xor_b32 s26, exec_lo, s2
	s_cbranch_execz .LBB0_4
; %bb.3:                                ;   in Loop: Header=BB0_2 Depth=1
	s_cvt_f32_u32 s2, s24
	s_cvt_f32_u32 s27, s25
	s_sub_nc_u64 s[30:31], 0, s[24:25]
	s_wait_alu 0xfffe
	s_delay_alu instid0(SALU_CYCLE_1) | instskip(SKIP_1) | instid1(SALU_CYCLE_2)
	s_fmamk_f32 s2, s27, 0x4f800000, s2
	s_wait_alu 0xfffe
	v_s_rcp_f32 s2, s2
	s_delay_alu instid0(TRANS32_DEP_1) | instskip(SKIP_1) | instid1(SALU_CYCLE_2)
	s_mul_f32 s2, s2, 0x5f7ffffc
	s_wait_alu 0xfffe
	s_mul_f32 s27, s2, 0x2f800000
	s_wait_alu 0xfffe
	s_delay_alu instid0(SALU_CYCLE_2) | instskip(SKIP_1) | instid1(SALU_CYCLE_2)
	s_trunc_f32 s27, s27
	s_wait_alu 0xfffe
	s_fmamk_f32 s2, s27, 0xcf800000, s2
	s_cvt_u32_f32 s29, s27
	s_wait_alu 0xfffe
	s_delay_alu instid0(SALU_CYCLE_1) | instskip(SKIP_1) | instid1(SALU_CYCLE_2)
	s_cvt_u32_f32 s28, s2
	s_wait_alu 0xfffe
	s_mul_u64 s[34:35], s[30:31], s[28:29]
	s_wait_alu 0xfffe
	s_mul_hi_u32 s37, s28, s35
	s_mul_i32 s36, s28, s35
	s_mul_hi_u32 s2, s28, s34
	s_mul_i32 s33, s29, s34
	s_wait_alu 0xfffe
	s_add_nc_u64 s[36:37], s[2:3], s[36:37]
	s_mul_hi_u32 s27, s29, s34
	s_mul_hi_u32 s38, s29, s35
	s_add_co_u32 s2, s36, s33
	s_wait_alu 0xfffe
	s_add_co_ci_u32 s2, s37, s27
	s_mul_i32 s34, s29, s35
	s_add_co_ci_u32 s35, s38, 0
	s_wait_alu 0xfffe
	s_add_nc_u64 s[34:35], s[2:3], s[34:35]
	s_wait_alu 0xfffe
	v_add_co_u32 v4, s2, s28, s34
	s_delay_alu instid0(VALU_DEP_1) | instskip(SKIP_1) | instid1(VALU_DEP_1)
	s_cmp_lg_u32 s2, 0
	s_add_co_ci_u32 s29, s29, s35
	v_readfirstlane_b32 s28, v4
	s_wait_alu 0xfffe
	s_delay_alu instid0(VALU_DEP_1)
	s_mul_u64 s[30:31], s[30:31], s[28:29]
	s_wait_alu 0xfffe
	s_mul_hi_u32 s35, s28, s31
	s_mul_i32 s34, s28, s31
	s_mul_hi_u32 s2, s28, s30
	s_mul_i32 s33, s29, s30
	s_wait_alu 0xfffe
	s_add_nc_u64 s[34:35], s[2:3], s[34:35]
	s_mul_hi_u32 s27, s29, s30
	s_mul_hi_u32 s28, s29, s31
	s_wait_alu 0xfffe
	s_add_co_u32 s2, s34, s33
	s_add_co_ci_u32 s2, s35, s27
	s_mul_i32 s30, s29, s31
	s_add_co_ci_u32 s31, s28, 0
	s_wait_alu 0xfffe
	s_add_nc_u64 s[30:31], s[2:3], s[30:31]
	s_wait_alu 0xfffe
	v_add_co_u32 v4, s2, v4, s30
	s_delay_alu instid0(VALU_DEP_1) | instskip(SKIP_1) | instid1(VALU_DEP_1)
	s_cmp_lg_u32 s2, 0
	s_add_co_ci_u32 s2, s29, s31
	v_mul_hi_u32 v13, v5, v4
	s_wait_alu 0xfffe
	v_mad_co_u64_u32 v[7:8], null, v5, s2, 0
	v_mad_co_u64_u32 v[9:10], null, v6, v4, 0
	;; [unrolled: 1-line block ×3, first 2 shown]
	s_delay_alu instid0(VALU_DEP_3) | instskip(SKIP_1) | instid1(VALU_DEP_4)
	v_add_co_u32 v4, vcc_lo, v13, v7
	s_wait_alu 0xfffd
	v_add_co_ci_u32_e32 v7, vcc_lo, 0, v8, vcc_lo
	s_delay_alu instid0(VALU_DEP_2) | instskip(SKIP_1) | instid1(VALU_DEP_2)
	v_add_co_u32 v4, vcc_lo, v4, v9
	s_wait_alu 0xfffd
	v_add_co_ci_u32_e32 v4, vcc_lo, v7, v10, vcc_lo
	s_wait_alu 0xfffd
	v_add_co_ci_u32_e32 v7, vcc_lo, 0, v12, vcc_lo
	s_delay_alu instid0(VALU_DEP_2) | instskip(SKIP_1) | instid1(VALU_DEP_2)
	v_add_co_u32 v4, vcc_lo, v4, v11
	s_wait_alu 0xfffd
	v_add_co_ci_u32_e32 v9, vcc_lo, 0, v7, vcc_lo
	s_delay_alu instid0(VALU_DEP_2) | instskip(SKIP_1) | instid1(VALU_DEP_3)
	v_mul_lo_u32 v10, s25, v4
	v_mad_co_u64_u32 v[7:8], null, s24, v4, 0
	v_mul_lo_u32 v11, s24, v9
	s_delay_alu instid0(VALU_DEP_2) | instskip(NEXT) | instid1(VALU_DEP_2)
	v_sub_co_u32 v7, vcc_lo, v5, v7
	v_add3_u32 v8, v8, v11, v10
	s_delay_alu instid0(VALU_DEP_1) | instskip(SKIP_1) | instid1(VALU_DEP_1)
	v_sub_nc_u32_e32 v10, v6, v8
	s_wait_alu 0xfffd
	v_subrev_co_ci_u32_e64 v10, s2, s25, v10, vcc_lo
	v_add_co_u32 v11, s2, v4, 2
	s_wait_alu 0xf1ff
	v_add_co_ci_u32_e64 v12, s2, 0, v9, s2
	v_sub_co_u32 v13, s2, v7, s24
	v_sub_co_ci_u32_e32 v8, vcc_lo, v6, v8, vcc_lo
	s_wait_alu 0xf1ff
	v_subrev_co_ci_u32_e64 v10, s2, 0, v10, s2
	s_delay_alu instid0(VALU_DEP_3) | instskip(NEXT) | instid1(VALU_DEP_3)
	v_cmp_le_u32_e32 vcc_lo, s24, v13
	v_cmp_eq_u32_e64 s2, s25, v8
	s_wait_alu 0xfffd
	v_cndmask_b32_e64 v13, 0, -1, vcc_lo
	v_cmp_le_u32_e32 vcc_lo, s25, v10
	s_wait_alu 0xfffd
	v_cndmask_b32_e64 v14, 0, -1, vcc_lo
	v_cmp_le_u32_e32 vcc_lo, s24, v7
	;; [unrolled: 3-line block ×3, first 2 shown]
	s_wait_alu 0xfffd
	v_cndmask_b32_e64 v15, 0, -1, vcc_lo
	v_cmp_eq_u32_e32 vcc_lo, s25, v10
	s_wait_alu 0xf1ff
	s_delay_alu instid0(VALU_DEP_2)
	v_cndmask_b32_e64 v7, v15, v7, s2
	s_wait_alu 0xfffd
	v_cndmask_b32_e32 v10, v14, v13, vcc_lo
	v_add_co_u32 v13, vcc_lo, v4, 1
	s_wait_alu 0xfffd
	v_add_co_ci_u32_e32 v14, vcc_lo, 0, v9, vcc_lo
	s_delay_alu instid0(VALU_DEP_3) | instskip(SKIP_1) | instid1(VALU_DEP_2)
	v_cmp_ne_u32_e32 vcc_lo, 0, v10
	s_wait_alu 0xfffd
	v_cndmask_b32_e32 v8, v14, v12, vcc_lo
	v_cndmask_b32_e32 v10, v13, v11, vcc_lo
	v_cmp_ne_u32_e32 vcc_lo, 0, v7
	s_wait_alu 0xfffd
	s_delay_alu instid0(VALU_DEP_2)
	v_dual_cndmask_b32 v65, v9, v8 :: v_dual_cndmask_b32 v64, v4, v10
.LBB0_4:                                ;   in Loop: Header=BB0_2 Depth=1
	s_wait_alu 0xfffe
	s_and_not1_saveexec_b32 s2, s26
	s_cbranch_execz .LBB0_6
; %bb.5:                                ;   in Loop: Header=BB0_2 Depth=1
	v_cvt_f32_u32_e32 v4, s24
	s_sub_co_i32 s26, 0, s24
	v_mov_b32_e32 v65, v3
	s_delay_alu instid0(VALU_DEP_2) | instskip(NEXT) | instid1(TRANS32_DEP_1)
	v_rcp_iflag_f32_e32 v4, v4
	v_mul_f32_e32 v4, 0x4f7ffffe, v4
	s_delay_alu instid0(VALU_DEP_1) | instskip(SKIP_1) | instid1(VALU_DEP_1)
	v_cvt_u32_f32_e32 v4, v4
	s_wait_alu 0xfffe
	v_mul_lo_u32 v7, s26, v4
	s_delay_alu instid0(VALU_DEP_1) | instskip(NEXT) | instid1(VALU_DEP_1)
	v_mul_hi_u32 v7, v4, v7
	v_add_nc_u32_e32 v4, v4, v7
	s_delay_alu instid0(VALU_DEP_1) | instskip(NEXT) | instid1(VALU_DEP_1)
	v_mul_hi_u32 v4, v5, v4
	v_mul_lo_u32 v7, v4, s24
	v_add_nc_u32_e32 v8, 1, v4
	s_delay_alu instid0(VALU_DEP_2) | instskip(NEXT) | instid1(VALU_DEP_1)
	v_sub_nc_u32_e32 v7, v5, v7
	v_subrev_nc_u32_e32 v9, s24, v7
	v_cmp_le_u32_e32 vcc_lo, s24, v7
	s_wait_alu 0xfffd
	s_delay_alu instid0(VALU_DEP_2) | instskip(NEXT) | instid1(VALU_DEP_1)
	v_dual_cndmask_b32 v7, v7, v9 :: v_dual_cndmask_b32 v4, v4, v8
	v_cmp_le_u32_e32 vcc_lo, s24, v7
	s_delay_alu instid0(VALU_DEP_2) | instskip(SKIP_1) | instid1(VALU_DEP_1)
	v_add_nc_u32_e32 v8, 1, v4
	s_wait_alu 0xfffd
	v_cndmask_b32_e32 v64, v4, v8, vcc_lo
.LBB0_6:                                ;   in Loop: Header=BB0_2 Depth=1
	s_wait_alu 0xfffe
	s_or_b32 exec_lo, exec_lo, s2
	v_mul_lo_u32 v4, v65, s24
	s_delay_alu instid0(VALU_DEP_2)
	v_mul_lo_u32 v9, v64, s25
	s_load_b64 s[26:27], s[18:19], 0x0
	v_mad_co_u64_u32 v[7:8], null, v64, s24, 0
	s_load_b64 s[24:25], s[16:17], 0x0
	s_add_nc_u64 s[20:21], s[20:21], 1
	s_add_nc_u64 s[16:17], s[16:17], 8
	s_wait_alu 0xfffe
	v_cmp_ge_u64_e64 s2, s[20:21], s[10:11]
	s_add_nc_u64 s[18:19], s[18:19], 8
	s_add_nc_u64 s[22:23], s[22:23], 8
	v_add3_u32 v4, v8, v9, v4
	v_sub_co_u32 v5, vcc_lo, v5, v7
	s_wait_alu 0xfffd
	s_delay_alu instid0(VALU_DEP_2) | instskip(SKIP_2) | instid1(VALU_DEP_1)
	v_sub_co_ci_u32_e32 v4, vcc_lo, v6, v4, vcc_lo
	s_and_b32 vcc_lo, exec_lo, s2
	s_wait_kmcnt 0x0
	v_mul_lo_u32 v6, s26, v4
	v_mul_lo_u32 v7, s27, v5
	v_mad_co_u64_u32 v[1:2], null, s26, v5, v[1:2]
	v_mul_lo_u32 v4, s24, v4
	v_mul_lo_u32 v8, s25, v5
	v_mad_co_u64_u32 v[62:63], null, s24, v5, v[62:63]
	s_delay_alu instid0(VALU_DEP_4) | instskip(NEXT) | instid1(VALU_DEP_2)
	v_add3_u32 v2, v7, v2, v6
	v_add3_u32 v63, v8, v63, v4
	s_wait_alu 0xfffe
	s_cbranch_vccnz .LBB0_9
; %bb.7:                                ;   in Loop: Header=BB0_2 Depth=1
	v_dual_mov_b32 v5, v64 :: v_dual_mov_b32 v6, v65
	s_branch .LBB0_2
.LBB0_8:
	v_dual_mov_b32 v63, v2 :: v_dual_mov_b32 v62, v1
	v_dual_mov_b32 v65, v6 :: v_dual_mov_b32 v64, v5
.LBB0_9:
	s_load_b64 s[0:1], s[0:1], 0x28
	v_mul_hi_u32 v3, 0x1e573ad, v0
	s_lshl_b64 s[10:11], s[10:11], 3
                                        ; implicit-def: $vgpr60
	s_wait_alu 0xfffe
	s_add_nc_u64 s[2:3], s[14:15], s[10:11]
	s_wait_kmcnt 0x0
	v_cmp_gt_u64_e32 vcc_lo, s[0:1], v[64:65]
	v_cmp_le_u64_e64 s0, s[0:1], v[64:65]
	s_delay_alu instid0(VALU_DEP_1)
	s_and_saveexec_b32 s1, s0
	s_wait_alu 0xfffe
	s_xor_b32 s0, exec_lo, s1
; %bb.10:
	v_mul_u32_u24_e32 v1, 0x87, v3
                                        ; implicit-def: $vgpr3
	s_delay_alu instid0(VALU_DEP_1)
	v_sub_nc_u32_e32 v60, v0, v1
                                        ; implicit-def: $vgpr0
                                        ; implicit-def: $vgpr1_vgpr2
; %bb.11:
	s_wait_alu 0xfffe
	s_or_saveexec_b32 s1, s0
	s_load_b64 s[2:3], s[2:3], 0x0
	s_xor_b32 exec_lo, exec_lo, s1
	s_cbranch_execz .LBB0_15
; %bb.12:
	s_add_nc_u64 s[10:11], s[12:13], s[10:11]
	v_lshlrev_b64_e32 v[1:2], 3, v[1:2]
	s_load_b64 s[10:11], s[10:11], 0x0
	s_wait_kmcnt 0x0
	v_mul_lo_u32 v6, s11, v64
	v_mul_lo_u32 v7, s10, v65
	v_mad_co_u64_u32 v[4:5], null, s10, v64, 0
	s_delay_alu instid0(VALU_DEP_1) | instskip(SKIP_1) | instid1(VALU_DEP_2)
	v_add3_u32 v5, v5, v7, v6
	v_mul_u32_u24_e32 v6, 0x87, v3
	v_lshlrev_b64_e32 v[3:4], 3, v[4:5]
	s_delay_alu instid0(VALU_DEP_2) | instskip(NEXT) | instid1(VALU_DEP_1)
	v_sub_nc_u32_e32 v60, v0, v6
	v_lshlrev_b32_e32 v61, 3, v60
	s_delay_alu instid0(VALU_DEP_3) | instskip(SKIP_1) | instid1(VALU_DEP_4)
	v_add_co_u32 v0, s0, s4, v3
	s_wait_alu 0xf1ff
	v_add_co_ci_u32_e64 v3, s0, s5, v4, s0
	s_delay_alu instid0(VALU_DEP_2) | instskip(SKIP_1) | instid1(VALU_DEP_2)
	v_add_co_u32 v0, s0, v0, v1
	s_wait_alu 0xf1ff
	v_add_co_ci_u32_e64 v1, s0, v3, v2, s0
	s_delay_alu instid0(VALU_DEP_2) | instskip(SKIP_1) | instid1(VALU_DEP_2)
	v_add_co_u32 v2, s0, v0, v61
	s_wait_alu 0xf1ff
	v_add_co_ci_u32_e64 v3, s0, 0, v1, s0
	s_clause 0x1d
	global_load_b64 v[4:5], v[2:3], off
	global_load_b64 v[6:7], v[2:3], off offset:1080
	global_load_b64 v[8:9], v[2:3], off offset:2160
	global_load_b64 v[10:11], v[2:3], off offset:3240
	global_load_b64 v[12:13], v[2:3], off offset:4320
	global_load_b64 v[14:15], v[2:3], off offset:5400
	global_load_b64 v[16:17], v[2:3], off offset:6480
	global_load_b64 v[18:19], v[2:3], off offset:7560
	global_load_b64 v[20:21], v[2:3], off offset:8640
	global_load_b64 v[22:23], v[2:3], off offset:9720
	global_load_b64 v[24:25], v[2:3], off offset:10800
	global_load_b64 v[26:27], v[2:3], off offset:11880
	global_load_b64 v[28:29], v[2:3], off offset:12960
	global_load_b64 v[30:31], v[2:3], off offset:14040
	global_load_b64 v[32:33], v[2:3], off offset:15120
	global_load_b64 v[34:35], v[2:3], off offset:16200
	global_load_b64 v[36:37], v[2:3], off offset:17280
	global_load_b64 v[38:39], v[2:3], off offset:18360
	global_load_b64 v[40:41], v[2:3], off offset:19440
	global_load_b64 v[42:43], v[2:3], off offset:20520
	global_load_b64 v[44:45], v[2:3], off offset:21600
	global_load_b64 v[46:47], v[2:3], off offset:22680
	global_load_b64 v[48:49], v[2:3], off offset:23760
	global_load_b64 v[50:51], v[2:3], off offset:24840
	global_load_b64 v[52:53], v[2:3], off offset:25920
	global_load_b64 v[54:55], v[2:3], off offset:27000
	global_load_b64 v[56:57], v[2:3], off offset:28080
	global_load_b64 v[58:59], v[2:3], off offset:29160
	global_load_b64 v[66:67], v[2:3], off offset:30240
	global_load_b64 v[2:3], v[2:3], off offset:31320
	v_add_nc_u32_e32 v61, 0, v61
	v_cmp_eq_u32_e64 s0, 0x86, v60
	s_delay_alu instid0(VALU_DEP_2)
	v_add_nc_u32_e32 v68, 0x800, v61
	v_add_nc_u32_e32 v69, 0x1000, v61
	v_add_nc_u32_e32 v70, 0x1800, v61
	v_add_nc_u32_e32 v71, 0x2000, v61
	v_add_nc_u32_e32 v72, 0x2800, v61
	v_add_nc_u32_e32 v73, 0x3000, v61
	v_add_nc_u32_e32 v74, 0x3800, v61
	v_add_nc_u32_e32 v75, 0x4000, v61
	v_add_nc_u32_e32 v76, 0x4a00, v61
	v_add_nc_u32_e32 v77, 0x5400, v61
	v_add_nc_u32_e32 v78, 0x5c00, v61
	v_add_nc_u32_e32 v79, 0x6400, v61
	v_add_nc_u32_e32 v80, 0x6c00, v61
	v_add_nc_u32_e32 v81, 0x7400, v61
	s_wait_loadcnt 0x1c
	ds_store_2addr_b64 v61, v[4:5], v[6:7] offset1:135
	s_wait_loadcnt 0x1a
	ds_store_2addr_b64 v68, v[8:9], v[10:11] offset0:14 offset1:149
	s_wait_loadcnt 0x18
	ds_store_2addr_b64 v69, v[12:13], v[14:15] offset0:28 offset1:163
	;; [unrolled: 2-line block ×14, first 2 shown]
	s_and_saveexec_b32 s4, s0
	s_cbranch_execz .LBB0_14
; %bb.13:
	global_load_b64 v[0:1], v[0:1], off offset:32400
	v_mov_b32_e32 v2, 0
	v_mov_b32_e32 v60, 0x86
	s_wait_loadcnt 0x0
	ds_store_b64 v2, v[0:1] offset:32400
.LBB0_14:
	s_wait_alu 0xfffe
	s_or_b32 exec_lo, exec_lo, s4
.LBB0_15:
	s_delay_alu instid0(SALU_CYCLE_1)
	s_or_b32 exec_lo, exec_lo, s1
	v_lshlrev_b32_e32 v0, 3, v60
	global_wb scope:SCOPE_SE
	s_wait_dscnt 0x0
	s_wait_kmcnt 0x0
	s_barrier_signal -1
	s_barrier_wait -1
	global_inv scope:SCOPE_SE
	v_add_nc_u32_e32 v66, 0, v0
	v_sub_nc_u32_e32 v8, 0, v0
	s_mov_b32 s1, exec_lo
                                        ; implicit-def: $vgpr2_vgpr3
	ds_load_b32 v4, v66
	ds_load_b32 v5, v8 offset:32400
	s_wait_dscnt 0x0
	v_dual_sub_f32 v1, v4, v5 :: v_dual_add_f32 v0, v5, v4
	v_cmpx_ne_u32_e32 0, v60
	s_wait_alu 0xfffe
	s_xor_b32 s1, exec_lo, s1
	s_cbranch_execz .LBB0_17
; %bb.16:
	v_dual_mov_b32 v61, 0 :: v_dual_add_f32 v6, v5, v4
	s_delay_alu instid0(VALU_DEP_1) | instskip(NEXT) | instid1(VALU_DEP_1)
	v_lshlrev_b64_e32 v[0:1], 3, v[60:61]
	v_add_co_u32 v0, s0, s8, v0
	s_wait_alu 0xf1ff
	s_delay_alu instid0(VALU_DEP_2)
	v_add_co_ci_u32_e64 v1, s0, s9, v1, s0
	global_load_b64 v[2:3], v[0:1], off offset:32320
	ds_load_b32 v0, v8 offset:32404
	ds_load_b32 v1, v66 offset:4
	v_sub_f32_e32 v7, v4, v5
	s_wait_dscnt 0x0
	v_dual_add_f32 v9, v0, v1 :: v_dual_sub_f32 v0, v1, v0
	s_wait_loadcnt 0x0
	s_delay_alu instid0(VALU_DEP_1) | instskip(SKIP_3) | instid1(VALU_DEP_3)
	v_fma_f32 v1, v9, v3, v0
	v_fma_f32 v4, -v7, v3, v6
	v_fma_f32 v5, v9, v3, -v0
	v_fma_f32 v10, v7, v3, v6
	v_dual_fmac_f32 v1, v7, v2 :: v_dual_fmac_f32 v4, v2, v9
	s_delay_alu instid0(VALU_DEP_3) | instskip(NEXT) | instid1(VALU_DEP_3)
	v_fmac_f32_e32 v5, v7, v2
	v_fma_f32 v0, -v2, v9, v10
	v_dual_mov_b32 v2, v60 :: v_dual_mov_b32 v3, v61
	ds_store_b64 v8, v[4:5] offset:32400
.LBB0_17:
	s_wait_alu 0xfffe
	s_and_not1_saveexec_b32 s0, s1
	s_cbranch_execz .LBB0_19
; %bb.18:
	v_mov_b32_e32 v6, 0
	ds_load_b64 v[2:3], v6 offset:16200
	s_wait_dscnt 0x0
	v_dual_mul_f32 v5, -2.0, v3 :: v_dual_add_f32 v4, v2, v2
	v_mov_b32_e32 v2, 0
	v_mov_b32_e32 v3, 0
	ds_store_b64 v6, v[4:5] offset:16200
.LBB0_19:
	s_wait_alu 0xfffe
	s_or_b32 exec_lo, exec_lo, s0
	v_lshlrev_b64_e32 v[2:3], 3, v[2:3]
	s_add_nc_u64 s[0:1], s[8:9], 0x7e40
	v_add_nc_u32_e32 v83, 0x87, v60
	v_add_nc_u32_e32 v77, 0x2800, v66
	v_add_nc_u32_e32 v75, 0x4000, v66
	v_add_nc_u32_e32 v79, 0x7400, v66
	s_wait_alu 0xfffe
	v_add_co_u32 v4, s0, s0, v2
	s_wait_alu 0xf1ff
	v_add_co_ci_u32_e64 v5, s0, s1, v3, s0
	v_cmp_gt_u32_e64 s0, 15, v60
	s_clause 0x6
	global_load_b64 v[2:3], v[4:5], off offset:1080
	global_load_b64 v[6:7], v[4:5], off offset:2160
	;; [unrolled: 1-line block ×7, first 2 shown]
	ds_store_b64 v66, v[0:1]
	ds_load_b64 v[0:1], v66 offset:1080
	ds_load_b64 v[19:20], v8 offset:31320
	global_load_b64 v[21:22], v[4:5], off offset:8640
	v_add_nc_u32_e32 v68, 0x3000, v66
	v_add_nc_u32_e32 v72, 0x800, v66
	;; [unrolled: 1-line block ×8, first 2 shown]
	s_wait_dscnt 0x0
	v_dual_add_f32 v23, v0, v19 :: v_dual_add_nc_u32 v78, 0x5c00, v66
	v_sub_f32_e32 v25, v0, v19
	v_add_f32_e32 v24, v20, v1
	v_sub_f32_e32 v0, v1, v20
	s_wait_loadcnt 0x7
	s_delay_alu instid0(VALU_DEP_1) | instskip(SKIP_2) | instid1(VALU_DEP_3)
	v_fma_f32 v1, v24, v3, v0
	v_fma_f32 v26, v25, v3, v23
	v_fma_f32 v19, -v25, v3, v23
	v_fmac_f32_e32 v1, v25, v2
	v_fma_f32 v20, v24, v3, -v0
	s_delay_alu instid0(VALU_DEP_4) | instskip(NEXT) | instid1(VALU_DEP_2)
	v_fma_f32 v0, -v2, v24, v26
	v_dual_fmac_f32 v19, v2, v24 :: v_dual_fmac_f32 v20, v25, v2
	ds_store_b64 v66, v[0:1] offset:1080
	ds_store_b64 v8, v[19:20] offset:31320
	ds_load_b64 v[0:1], v66 offset:2160
	ds_load_b64 v[2:3], v8 offset:30240
	global_load_b64 v[19:20], v[4:5], off offset:9720
	s_wait_dscnt 0x0
	v_dual_add_f32 v23, v0, v2 :: v_dual_add_f32 v24, v3, v1
	v_dual_sub_f32 v25, v0, v2 :: v_dual_sub_f32 v0, v1, v3
	s_wait_loadcnt 0x7
	s_delay_alu instid0(VALU_DEP_1) | instskip(NEXT) | instid1(VALU_DEP_2)
	v_fma_f32 v2, -v25, v7, v23
	v_fma_f32 v1, v24, v7, v0
	v_fma_f32 v3, v24, v7, -v0
	s_delay_alu instid0(VALU_DEP_3) | instskip(SKIP_1) | instid1(VALU_DEP_4)
	v_fmac_f32_e32 v2, v6, v24
	v_fma_f32 v26, v25, v7, v23
	v_fmac_f32_e32 v1, v25, v6
	s_delay_alu instid0(VALU_DEP_4) | instskip(NEXT) | instid1(VALU_DEP_3)
	v_fmac_f32_e32 v3, v25, v6
	v_fma_f32 v0, -v6, v24, v26
	ds_store_b64 v66, v[0:1] offset:2160
	ds_store_b64 v8, v[2:3] offset:30240
	ds_load_b64 v[0:1], v66 offset:3240
	ds_load_b64 v[2:3], v8 offset:29160
	global_load_b64 v[6:7], v[4:5], off offset:10800
	s_wait_dscnt 0x0
	v_dual_add_f32 v23, v0, v2 :: v_dual_add_f32 v24, v3, v1
	v_dual_sub_f32 v25, v0, v2 :: v_dual_sub_f32 v0, v1, v3
	s_wait_loadcnt 0x7
	s_delay_alu instid0(VALU_DEP_1) | instskip(NEXT) | instid1(VALU_DEP_2)
	v_fma_f32 v26, v25, v10, v23
	v_fma_f32 v1, v24, v10, v0
	v_fma_f32 v2, -v25, v10, v23
	v_fma_f32 v3, v24, v10, -v0
	s_delay_alu instid0(VALU_DEP_4) | instskip(NEXT) | instid1(VALU_DEP_4)
	v_fma_f32 v0, -v9, v24, v26
	v_fmac_f32_e32 v1, v25, v9
	s_delay_alu instid0(VALU_DEP_4) | instskip(NEXT) | instid1(VALU_DEP_4)
	v_fmac_f32_e32 v2, v9, v24
	v_fmac_f32_e32 v3, v25, v9
	ds_store_b64 v66, v[0:1] offset:3240
	ds_store_b64 v8, v[2:3] offset:29160
	ds_load_b64 v[0:1], v66 offset:4320
	ds_load_b64 v[2:3], v8 offset:28080
	global_load_b64 v[9:10], v[4:5], off offset:11880
	s_wait_dscnt 0x0
	v_dual_add_f32 v23, v0, v2 :: v_dual_add_f32 v24, v3, v1
	v_dual_sub_f32 v25, v0, v2 :: v_dual_sub_f32 v0, v1, v3
	s_wait_loadcnt 0x7
	s_delay_alu instid0(VALU_DEP_1) | instskip(NEXT) | instid1(VALU_DEP_2)
	v_fma_f32 v26, v25, v12, v23
	v_fma_f32 v1, v24, v12, v0
	v_fma_f32 v2, -v25, v12, v23
	v_fma_f32 v3, v24, v12, -v0
	s_delay_alu instid0(VALU_DEP_4) | instskip(NEXT) | instid1(VALU_DEP_3)
	v_fma_f32 v0, -v11, v24, v26
	v_dual_fmac_f32 v1, v25, v11 :: v_dual_fmac_f32 v2, v11, v24
	s_delay_alu instid0(VALU_DEP_3)
	v_fmac_f32_e32 v3, v25, v11
	ds_store_b64 v66, v[0:1] offset:4320
	ds_store_b64 v8, v[2:3] offset:28080
	ds_load_b64 v[0:1], v66 offset:5400
	ds_load_b64 v[2:3], v8 offset:27000
	global_load_b64 v[11:12], v[4:5], off offset:12960
	s_wait_dscnt 0x0
	v_dual_add_f32 v23, v0, v2 :: v_dual_add_f32 v24, v3, v1
	v_dual_sub_f32 v25, v0, v2 :: v_dual_sub_f32 v0, v1, v3
	s_wait_loadcnt 0x7
	s_delay_alu instid0(VALU_DEP_1) | instskip(NEXT) | instid1(VALU_DEP_2)
	v_fma_f32 v26, v25, v14, v23
	v_fma_f32 v1, v24, v14, v0
	v_fma_f32 v2, -v25, v14, v23
	v_fma_f32 v3, v24, v14, -v0
	s_delay_alu instid0(VALU_DEP_4) | instskip(NEXT) | instid1(VALU_DEP_4)
	v_fma_f32 v0, -v13, v24, v26
	v_fmac_f32_e32 v1, v25, v13
	s_delay_alu instid0(VALU_DEP_4) | instskip(NEXT) | instid1(VALU_DEP_4)
	v_fmac_f32_e32 v2, v13, v24
	v_fmac_f32_e32 v3, v25, v13
	ds_store_b64 v66, v[0:1] offset:5400
	ds_store_b64 v8, v[2:3] offset:27000
	ds_load_b64 v[0:1], v66 offset:6480
	ds_load_b64 v[13:14], v8 offset:25920
	global_load_b64 v[2:3], v[4:5], off offset:14040
	s_wait_dscnt 0x0
	v_add_f32_e32 v23, v0, v13
	v_sub_f32_e32 v25, v0, v13
	v_add_f32_e32 v24, v14, v1
	s_wait_loadcnt 0x7
	s_delay_alu instid0(VALU_DEP_2) | instskip(SKIP_2) | instid1(VALU_DEP_3)
	v_fma_f32 v13, -v25, v16, v23
	v_sub_f32_e32 v0, v1, v14
	v_fma_f32 v26, v25, v16, v23
	v_fmac_f32_e32 v13, v15, v24
	s_delay_alu instid0(VALU_DEP_3) | instskip(SKIP_1) | instid1(VALU_DEP_4)
	v_fma_f32 v1, v24, v16, v0
	v_fma_f32 v14, v24, v16, -v0
	v_fma_f32 v0, -v15, v24, v26
	s_delay_alu instid0(VALU_DEP_3) | instskip(NEXT) | instid1(VALU_DEP_3)
	v_fmac_f32_e32 v1, v25, v15
	v_fmac_f32_e32 v14, v25, v15
	ds_store_b64 v66, v[0:1] offset:6480
	ds_store_b64 v8, v[13:14] offset:25920
	ds_load_b64 v[13:14], v66 offset:7560
	ds_load_b64 v[15:16], v8 offset:24840
	global_load_b64 v[0:1], v[4:5], off offset:15120
	s_wait_dscnt 0x0
	v_dual_add_f32 v4, v13, v15 :: v_dual_add_f32 v23, v16, v14
	v_dual_sub_f32 v15, v13, v15 :: v_dual_sub_f32 v14, v14, v16
	s_wait_loadcnt 0x7
	s_delay_alu instid0(VALU_DEP_1) | instskip(NEXT) | instid1(VALU_DEP_2)
	v_fma_f32 v16, v15, v18, v4
	v_fma_f32 v5, v23, v18, v14
	v_fma_f32 v13, -v15, v18, v4
	v_fma_f32 v14, v23, v18, -v14
	s_delay_alu instid0(VALU_DEP_4) | instskip(NEXT) | instid1(VALU_DEP_4)
	v_fma_f32 v4, -v17, v23, v16
	v_fmac_f32_e32 v5, v15, v17
	s_delay_alu instid0(VALU_DEP_3)
	v_dual_fmac_f32 v13, v17, v23 :: v_dual_fmac_f32 v14, v15, v17
	ds_store_b64 v66, v[4:5] offset:7560
	ds_store_b64 v8, v[13:14] offset:24840
	ds_load_b64 v[4:5], v66 offset:8640
	ds_load_b64 v[13:14], v8 offset:23760
	s_wait_dscnt 0x0
	v_add_f32_e32 v15, v4, v13
	v_add_f32_e32 v16, v14, v5
	v_dual_sub_f32 v17, v4, v13 :: v_dual_sub_f32 v4, v5, v14
	s_wait_loadcnt 0x6
	s_delay_alu instid0(VALU_DEP_1) | instskip(NEXT) | instid1(VALU_DEP_2)
	v_fma_f32 v18, v17, v22, v15
	v_fma_f32 v5, v16, v22, v4
	v_fma_f32 v13, -v17, v22, v15
	v_fma_f32 v14, v16, v22, -v4
	s_delay_alu instid0(VALU_DEP_4) | instskip(NEXT) | instid1(VALU_DEP_4)
	v_fma_f32 v4, -v21, v16, v18
	v_fmac_f32_e32 v5, v17, v21
	s_delay_alu instid0(VALU_DEP_4) | instskip(NEXT) | instid1(VALU_DEP_4)
	v_fmac_f32_e32 v13, v21, v16
	v_fmac_f32_e32 v14, v17, v21
	ds_store_b64 v66, v[4:5] offset:8640
	ds_store_b64 v8, v[13:14] offset:23760
	ds_load_b64 v[4:5], v66 offset:9720
	ds_load_b64 v[13:14], v8 offset:22680
	s_wait_dscnt 0x0
	v_add_f32_e32 v16, v14, v5
	v_sub_f32_e32 v17, v4, v13
	v_dual_add_f32 v15, v4, v13 :: v_dual_sub_f32 v4, v5, v14
	s_wait_loadcnt 0x5
	s_delay_alu instid0(VALU_DEP_1) | instskip(SKIP_1) | instid1(VALU_DEP_2)
	v_fma_f32 v14, v16, v20, -v4
	v_fma_f32 v5, v16, v20, v4
	v_fmac_f32_e32 v14, v17, v19
	v_fma_f32 v18, v17, v20, v15
	v_fma_f32 v13, -v17, v20, v15
	s_delay_alu instid0(VALU_DEP_4) | instskip(NEXT) | instid1(VALU_DEP_3)
	v_fmac_f32_e32 v5, v17, v19
	v_fma_f32 v4, -v19, v16, v18
	s_delay_alu instid0(VALU_DEP_3)
	v_fmac_f32_e32 v13, v19, v16
	ds_store_b64 v66, v[4:5] offset:9720
	ds_store_b64 v8, v[13:14] offset:22680
	ds_load_b64 v[4:5], v66 offset:10800
	ds_load_b64 v[13:14], v8 offset:21600
	s_wait_dscnt 0x0
	v_add_f32_e32 v16, v14, v5
	v_sub_f32_e32 v17, v4, v13
	v_dual_add_f32 v15, v4, v13 :: v_dual_sub_f32 v4, v5, v14
	s_wait_loadcnt 0x4
	s_delay_alu instid0(VALU_DEP_1) | instskip(SKIP_1) | instid1(VALU_DEP_2)
	v_fma_f32 v14, v16, v7, -v4
	v_fma_f32 v5, v16, v7, v4
	v_fmac_f32_e32 v14, v17, v6
	v_fma_f32 v18, v17, v7, v15
	v_fma_f32 v13, -v17, v7, v15
	s_delay_alu instid0(VALU_DEP_4) | instskip(NEXT) | instid1(VALU_DEP_3)
	v_fmac_f32_e32 v5, v17, v6
	v_fma_f32 v4, -v6, v16, v18
	s_delay_alu instid0(VALU_DEP_3)
	v_fmac_f32_e32 v13, v6, v16
	ds_store_b64 v66, v[4:5] offset:10800
	ds_store_b64 v8, v[13:14] offset:21600
	ds_load_b64 v[4:5], v66 offset:11880
	ds_load_b64 v[6:7], v8 offset:20520
	s_wait_dscnt 0x0
	v_dual_add_f32 v13, v4, v6 :: v_dual_add_f32 v14, v7, v5
	v_dual_sub_f32 v15, v4, v6 :: v_dual_sub_f32 v4, v5, v7
	s_wait_loadcnt 0x3
	s_delay_alu instid0(VALU_DEP_1) | instskip(NEXT) | instid1(VALU_DEP_2)
	v_fma_f32 v16, v15, v10, v13
	v_fma_f32 v5, v14, v10, v4
	v_fma_f32 v6, -v15, v10, v13
	v_fma_f32 v7, v14, v10, -v4
	s_delay_alu instid0(VALU_DEP_4) | instskip(NEXT) | instid1(VALU_DEP_3)
	v_fma_f32 v4, -v9, v14, v16
	v_dual_fmac_f32 v5, v15, v9 :: v_dual_fmac_f32 v6, v9, v14
	s_delay_alu instid0(VALU_DEP_3)
	v_fmac_f32_e32 v7, v15, v9
	ds_store_b64 v66, v[4:5] offset:11880
	ds_store_b64 v8, v[6:7] offset:20520
	ds_load_b64 v[4:5], v66 offset:12960
	ds_load_b64 v[6:7], v8 offset:19440
	v_and_b32_e32 v16, 0xffff, v80
	v_and_b32_e32 v15, 0xffff, v84
	s_delay_alu instid0(VALU_DEP_2) | instskip(NEXT) | instid1(VALU_DEP_1)
	v_mul_u32_u24_e32 v30, 0xcccd, v16
	v_lshrrev_b32_e32 v86, 19, v30
	s_wait_dscnt 0x0
	v_dual_add_f32 v9, v4, v6 :: v_dual_add_f32 v10, v7, v5
	v_dual_sub_f32 v13, v4, v6 :: v_dual_sub_f32 v4, v5, v7
	s_wait_loadcnt 0x2
	s_delay_alu instid0(VALU_DEP_1) | instskip(NEXT) | instid1(VALU_DEP_2)
	v_fma_f32 v14, v13, v12, v9
	v_fma_f32 v5, v10, v12, v4
	v_fma_f32 v6, -v13, v12, v9
	v_fma_f32 v7, v10, v12, -v4
	s_delay_alu instid0(VALU_DEP_4) | instskip(NEXT) | instid1(VALU_DEP_3)
	v_fma_f32 v4, -v11, v10, v14
	v_dual_fmac_f32 v5, v13, v11 :: v_dual_fmac_f32 v6, v11, v10
	s_delay_alu instid0(VALU_DEP_3)
	v_fmac_f32_e32 v7, v13, v11
	ds_store_b64 v66, v[4:5] offset:12960
	ds_store_b64 v8, v[6:7] offset:19440
	ds_load_b64 v[4:5], v66 offset:14040
	ds_load_b64 v[6:7], v8 offset:18360
	s_wait_dscnt 0x0
	v_dual_add_f32 v11, v4, v6 :: v_dual_and_b32 v14, 0xffff, v83
	v_dual_add_f32 v9, v7, v5 :: v_dual_sub_f32 v10, v4, v6
	v_sub_f32_e32 v5, v5, v7
	s_wait_loadcnt 0x1
	s_delay_alu instid0(VALU_DEP_2) | instskip(NEXT) | instid1(VALU_DEP_2)
	v_fma_f32 v6, v10, v3, v11
	v_fma_f32 v7, v9, v3, v5
	v_fma_f32 v4, -v10, v3, v11
	v_fma_f32 v5, v9, v3, -v5
	s_delay_alu instid0(VALU_DEP_4) | instskip(NEXT) | instid1(VALU_DEP_4)
	v_fma_f32 v6, -v2, v9, v6
	v_fmac_f32_e32 v7, v10, v2
	s_delay_alu instid0(VALU_DEP_4) | instskip(NEXT) | instid1(VALU_DEP_4)
	v_fmac_f32_e32 v4, v2, v9
	v_fmac_f32_e32 v5, v10, v2
	ds_store_b64 v66, v[6:7] offset:14040
	ds_store_b64 v8, v[4:5] offset:18360
	ds_load_b64 v[2:3], v66 offset:15120
	ds_load_b64 v[4:5], v8 offset:17280
	v_mul_u32_u24_e32 v6, 10, v60
	v_add_nc_u32_e32 v61, 0x1800, v66
	v_add_nc_u32_e32 v67, 0x4a00, v66
	s_delay_alu instid0(VALU_DEP_3) | instskip(NEXT) | instid1(VALU_DEP_1)
	v_lshl_add_u32 v7, v6, 3, 0
	v_add_nc_u32_e32 v102, 0x5470, v7
	v_add_nc_u32_e32 v104, 0x5490, v7
	;; [unrolled: 1-line block ×3, first 2 shown]
	s_wait_dscnt 0x0
	v_dual_add_f32 v17, v2, v4 :: v_dual_add_nc_u32 v12, 0x2a60, v7
	v_dual_add_f32 v18, v5, v3 :: v_dual_sub_f32 v19, v2, v4
	v_sub_f32_e32 v4, v3, v5
	v_mul_u32_u24_e32 v5, 0xcccd, v14
	s_wait_loadcnt 0x0
	s_delay_alu instid0(VALU_DEP_3) | instskip(NEXT) | instid1(VALU_DEP_3)
	v_fma_f32 v14, v19, v1, v17
	v_fma_f32 v2, v18, v1, v4
	v_fma_f32 v3, -v19, v1, v17
	v_fma_f32 v4, v18, v1, -v4
	v_add_nc_u32_e32 v69, 0x6400, v66
	v_fma_f32 v1, -v0, v18, v14
	s_delay_alu instid0(VALU_DEP_4) | instskip(NEXT) | instid1(VALU_DEP_4)
	v_dual_fmac_f32 v2, v19, v0 :: v_dual_fmac_f32 v3, v0, v18
	v_fmac_f32_e32 v4, v19, v0
	v_mul_u32_u24_e32 v0, 0xcccd, v15
	ds_store_b64 v66, v[1:2] offset:15120
	ds_store_b64 v8, v[3:4] offset:17280
	global_wb scope:SCOPE_SE
	s_wait_dscnt 0x0
	s_barrier_signal -1
	s_barrier_wait -1
	global_inv scope:SCOPE_SE
	global_wb scope:SCOPE_SE
	s_barrier_signal -1
	s_barrier_wait -1
	global_inv scope:SCOPE_SE
	ds_load_2addr_b64 v[1:4], v66 offset1:135
	ds_load_2addr_b64 v[14:17], v61 offset0:42 offset1:177
	ds_load_2addr_b64 v[18:21], v68 offset0:84 offset1:219
	;; [unrolled: 1-line block ×4, first 2 shown]
	v_add_nc_u32_e32 v73, 0x3800, v66
	v_and_b32_e32 v85, 0xff, v60
	v_add_nc_u32_e32 v71, 0x6c00, v66
	v_lshrrev_b32_e32 v87, 19, v0
	v_add_nc_u32_e32 v103, 0x5480, v7
	v_lshrrev_b32_e32 v88, 19, v5
	v_mul_lo_u16 v6, 0xcd, v85
	v_add_nc_u32_e32 v105, 0x54a0, v7
	v_add_nc_u32_e32 v81, 0x2a3, v60
	;; [unrolled: 1-line block ×3, first 2 shown]
	v_mul_lo_u16 v5, v88, 10
	v_lshrrev_b16 v6, 11, v6
	s_delay_alu instid0(VALU_DEP_1)
	v_mul_lo_u16 v8, v6, 10
	s_wait_dscnt 0x3
	v_add_f32_e32 v111, v2, v15
	s_wait_dscnt 0x1
	v_sub_f32_e32 v106, v19, v23
	v_add_f32_e32 v112, v19, v23
	ds_load_2addr_b64 v[30:33], v72 offset0:14 offset1:149
	ds_load_2addr_b64 v[34:37], v70 offset0:56 offset1:191
	;; [unrolled: 1-line block ×10, first 2 shown]
	v_sub_nc_u16 v0, v60, v8
	v_add_f32_e32 v8, v1, v14
	v_sub_f32_e32 v113, v18, v22
	v_add_f32_e32 v127, v3, v16
	v_add_f32_e32 v133, v4, v17
	v_add_nc_u32_e32 v13, 0x2a70, v7
	v_dual_add_f32 v58, v18, v22 :: v_dual_add_nc_u32 v59, 0x5460, v7
	s_wait_dscnt 0xa
	v_dual_sub_f32 v101, v15, v27 :: v_dual_add_f32 v134, v21, v25
	v_dual_sub_f32 v107, v14, v18 :: v_dual_sub_f32 v136, v17, v21
	s_wait_dscnt 0x8
	v_add_f32_e32 v116, v32, v36
	v_dual_add_f32 v144, v31, v35 :: v_dual_add_f32 v109, v14, v26
	v_add_f32_e32 v138, v16, v28
	s_wait_dscnt 0x3
	v_dual_add_f32 v152, v50, v54 :: v_dual_add_f32 v153, v51, v55
	v_dual_add_f32 v155, v53, v57 :: v_dual_sub_f32 v110, v18, v14
	v_sub_f32_e32 v114, v15, v19
	v_dual_add_f32 v115, v15, v27 :: v_dual_add_f32 v140, v38, v42
	v_dual_sub_f32 v15, v19, v15 :: v_dual_sub_f32 v142, v34, v38
	v_dual_add_f32 v117, v40, v44 :: v_dual_sub_f32 v146, v38, v42
	v_dual_sub_f32 v119, v41, v45 :: v_dual_sub_f32 v148, v39, v35
	v_sub_f32_e32 v120, v36, v40
	v_dual_sub_f32 v121, v40, v36 :: v_dual_sub_f32 v150, v35, v47
	v_sub_f32_e32 v124, v40, v44
	v_sub_f32_e32 v126, v41, v37
	v_dual_add_f32 v128, v20, v24 :: v_dual_sub_f32 v129, v17, v29
	v_add_f32_e32 v154, v52, v56
	v_dual_sub_f32 v130, v21, v25 :: v_dual_sub_f32 v131, v16, v20
	s_wait_dscnt 0x1
	v_add_f32_e32 v156, v89, v93
	v_sub_f32_e32 v132, v20, v16
	v_dual_sub_f32 v135, v20, v24 :: v_dual_sub_f32 v158, v54, v89
	v_dual_sub_f32 v137, v21, v17 :: v_dual_sub_f32 v162, v55, v90
	v_dual_sub_f32 v16, v16, v28 :: v_dual_add_f32 v17, v17, v29
	v_dual_add_f32 v164, v91, v95 :: v_dual_add_f32 v139, v30, v34
	v_sub_f32_e32 v166, v56, v91
	v_dual_sub_f32 v141, v39, v43 :: v_dual_add_f32 v8, v8, v18
	v_dual_sub_f32 v143, v38, v34 :: v_dual_add_f32 v18, v111, v19
	;; [unrolled: 1-line block ×3, first 2 shown]
	v_dual_add_f32 v151, v34, v46 :: v_dual_sub_f32 v116, v92, v57
	v_sub_f32_e32 v157, v90, v94
	v_sub_f32_e32 v159, v89, v54
	v_dual_add_f32 v160, v90, v94 :: v_dual_add_f32 v145, v39, v43
	v_sub_f32_e32 v165, v92, v96
	v_dual_add_f32 v19, v127, v20 :: v_dual_add_f32 v20, v133, v21
	v_sub_f32_e32 v21, v91, v56
	v_add_f32_e32 v111, v92, v96
	v_sub_f32_e32 v133, v57, v92
	v_add_f32_e32 v39, v144, v39
	v_dual_add_f32 v144, v152, v89 :: v_dual_sub_f32 v163, v90, v55
	s_wait_dscnt 0x0
	v_dual_add_f32 v90, v153, v90 :: v_dual_add_f32 v153, v56, v99
	v_sub_f32_e32 v56, v56, v99
	v_add_f32_e32 v92, v155, v92
	v_sub_f32_e32 v155, v27, v23
	v_sub_f32_e32 v161, v89, v93
	;; [unrolled: 1-line block ×3, first 2 shown]
	v_dual_sub_f32 v125, v37, v41 :: v_dual_sub_f32 v34, v34, v46
	v_sub_nc_u16 v5, v83, v5
	v_dual_add_f32 v149, v36, v48 :: v_dual_add_f32 v38, v139, v38
	s_delay_alu instid0(VALU_DEP_4) | instskip(SKIP_3) | instid1(VALU_DEP_4)
	v_dual_add_f32 v110, v110, v89 :: v_dual_sub_f32 v89, v48, v44
	v_dual_sub_f32 v127, v91, v95 :: v_dual_sub_f32 v152, v57, v100
	v_add_f32_e32 v57, v57, v100
	v_fma_f32 v109, -0.5, v109, v1
	v_add_f32_e32 v120, v120, v89
	v_sub_f32_e32 v167, v49, v45
	v_fma_f32 v115, -0.5, v115, v2
	v_fma_f32 v58, -0.5, v58, v1
	v_add_f32_e32 v1, v8, v22
	v_dual_add_f32 v8, v19, v24 :: v_dual_and_b32 v89, 0xffff, v5
	v_add_f32_e32 v5, v125, v167
	v_sub_f32_e32 v125, v96, v100
	v_dual_add_f32 v122, v33, v37 :: v_dual_add_nc_u32 v11, 0x2a50, v7
	v_sub_f32_e32 v118, v37, v49
	v_dual_add_f32 v123, v41, v45 :: v_dual_sub_f32 v36, v36, v48
	v_add_f32_e32 v37, v37, v49
	v_add_f32_e32 v35, v35, v47
	v_fma_f32 v111, -0.5, v111, v53
	v_fmac_f32_e32 v53, -0.5, v57
	v_fma_f32 v149, -0.5, v149, v32
	v_fma_f32 v32, -0.5, v117, v32
	v_add_f32_e32 v57, v116, v125
	v_fma_f32 v125, -0.5, v134, v4
	v_sub_f32_e32 v134, v94, v98
	v_add_f32_e32 v139, v54, v97
	v_dual_add_f32 v41, v122, v41 :: v_dual_and_b32 v0, 0xff, v0
	v_sub_f32_e32 v122, v55, v98
	v_sub_f32_e32 v54, v54, v97
	v_fmac_f32_e32 v4, -0.5, v17
	v_add_f32_e32 v134, v163, v134
	v_fma_f32 v145, -0.5, v145, v31
	v_fma_f32 v37, -0.5, v37, v33
	;; [unrolled: 1-line block ×5, first 2 shown]
	v_fmac_f32_e32 v31, -0.5, v35
	v_sub_f32_e32 v35, v28, v24
	v_fma_f32 v128, -0.5, v128, v3
	v_fma_f32 v3, -0.5, v138, v3
	;; [unrolled: 1-line block ×3, first 2 shown]
	s_delay_alu instid0(VALU_DEP_4)
	v_dual_sub_f32 v108, v26, v22 :: v_dual_add_f32 v35, v131, v35
	v_dual_add_f32 v8, v8, v28 :: v_dual_sub_f32 v131, v97, v93
	v_sub_f32_e32 v116, v25, v29
	v_sub_f32_e32 v17, v93, v97
	v_fma_f32 v30, -0.5, v151, v30
	v_fmamk_f32 v139, v150, 0xbf737871, v138
	v_dual_fmac_f32 v138, 0x3f737871, v150 :: v_dual_add_f32 v131, v158, v131
	v_sub_f32_e32 v158, v42, v46
	v_dual_add_f32 v114, v114, v155 :: v_dual_sub_f32 v155, v44, v48
	v_add_f32_e32 v107, v107, v108
	v_sub_f32_e32 v108, v23, v27
	v_add_f32_e32 v116, v137, v116
	v_fma_f32 v112, -0.5, v112, v2
	v_add_f32_e32 v2, v18, v23
	v_dual_add_f32 v121, v121, v155 :: v_dual_add_f32 v18, v40, v44
	v_fmamk_f32 v44, v118, 0xbf737871, v32
	v_dual_fmac_f32 v32, 0x3f737871, v118 :: v_dual_add_f32 v137, v159, v17
	v_sub_f32_e32 v17, v43, v47
	v_add_f32_e32 v91, v154, v91
	v_sub_f32_e32 v159, v95, v99
	v_dual_add_f32 v143, v143, v158 :: v_dual_sub_f32 v158, v100, v96
	s_delay_alu instid0(VALU_DEP_4) | instskip(SKIP_4) | instid1(VALU_DEP_4)
	v_add_f32_e32 v148, v148, v17
	v_sub_f32_e32 v17, v24, v28
	v_add_f32_e32 v55, v55, v98
	v_dual_sub_f32 v155, v45, v49 :: v_dual_add_f32 v24, v91, v95
	v_sub_f32_e32 v14, v14, v26
	v_dual_add_f32 v132, v132, v17 :: v_dual_sub_f32 v17, v98, v94
	v_fmamk_f32 v140, v141, 0x3f737871, v30
	s_delay_alu instid0(VALU_DEP_4) | instskip(NEXT) | instid1(VALU_DEP_3)
	v_dual_add_f32 v126, v126, v155 :: v_dual_add_f32 v19, v41, v45
	v_dual_add_f32 v117, v133, v158 :: v_dual_add_f32 v162, v162, v17
	v_sub_f32_e32 v17, v47, v43
	v_fma_f32 v133, -0.5, v160, v51
	v_dual_add_f32 v23, v90, v94 :: v_dual_fmamk_f32 v40, v113, 0xbf737871, v115
	v_fmamk_f32 v90, v129, 0xbf737871, v128
	v_dual_fmac_f32 v128, 0x3f737871, v129 :: v_dual_add_f32 v159, v21, v159
	v_sub_f32_e32 v21, v29, v25
	v_add_f32_e32 v22, v144, v93
	v_dual_fmamk_f32 v144, v34, 0x3f737871, v145 :: v_dual_add_f32 v147, v147, v17
	v_dual_add_f32 v17, v20, v25 :: v_dual_fmac_f32 v40, 0x3f167918, v14
	v_dual_add_f32 v25, v92, v96 :: v_dual_fmamk_f32 v96, v54, 0x3f737871, v133
	v_dual_add_f32 v136, v136, v21 :: v_dual_sub_f32 v21, v46, v42
	s_delay_alu instid0(VALU_DEP_3) | instskip(SKIP_2) | instid1(VALU_DEP_4)
	v_dual_add_f32 v28, v17, v29 :: v_dual_add_f32 v15, v15, v108
	v_add_f32_e32 v20, v38, v42
	v_fmamk_f32 v42, v101, 0xbf737871, v58
	v_dual_add_f32 v142, v142, v21 :: v_dual_sub_f32 v21, v99, v95
	v_fmac_f32_e32 v58, 0x3f737871, v101
	s_delay_alu instid0(VALU_DEP_4) | instskip(NEXT) | instid1(VALU_DEP_3)
	v_dual_add_f32 v46, v20, v46 :: v_dual_lshlrev_b32 v155, 5, v0
	v_dual_fmamk_f32 v38, v119, 0x3f737871, v149 :: v_dual_add_f32 v163, v166, v21
	v_add_f32_e32 v21, v39, v43
	s_delay_alu instid0(VALU_DEP_4)
	v_dual_add_f32 v27, v2, v27 :: v_dual_fmac_f32 v58, 0x3f167918, v106
	v_dual_add_f32 v17, v18, v48 :: v_dual_fmac_f32 v44, 0xbf167918, v119
	v_dual_add_f32 v18, v19, v49 :: v_dual_fmamk_f32 v39, v106, 0x3f737871, v109
	v_fmac_f32_e32 v42, 0xbf167918, v106
	v_fma_f32 v51, -0.5, v55, v51
	v_fma_f32 v55, -0.5, v164, v52
	s_delay_alu instid0(VALU_DEP_4)
	v_add_f32_e32 v2, v27, v18
	v_fma_f32 v52, -0.5, v153, v52
	v_fmac_f32_e32 v42, 0x3e9e377a, v107
	v_fmamk_f32 v93, v135, 0xbf737871, v4
	v_fmac_f32_e32 v4, 0x3f737871, v135
	v_fmac_f32_e32 v39, 0xbf167918, v101
	v_dual_fmamk_f32 v92, v16, 0x3f737871, v125 :: v_dual_fmamk_f32 v49, v165, 0x3f737871, v52
	v_fmac_f32_e32 v52, 0xbf737871, v165
	v_dual_add_f32 v26, v1, v26 :: v_dual_lshlrev_b32 v167, 5, v89
	v_fmac_f32_e32 v4, 0xbf167918, v16
	v_dual_fmac_f32 v39, 0x3e9e377a, v110 :: v_dual_fmac_f32 v40, 0x3e9e377a, v15
	v_fmamk_f32 v43, v14, 0x3f737871, v112
	v_fmac_f32_e32 v112, 0xbf737871, v14
	v_dual_fmac_f32 v38, 0xbf167918, v118 :: v_dual_add_f32 v47, v21, v47
	v_fmac_f32_e32 v90, 0xbf167918, v130
	v_dual_fmac_f32 v92, 0x3f167918, v135 :: v_dual_fmac_f32 v93, 0x3f167918, v16
	s_delay_alu instid0(VALU_DEP_4) | instskip(SKIP_2) | instid1(VALU_DEP_4)
	v_fmac_f32_e32 v112, 0xbf167918, v113
	v_dual_add_f32 v20, v23, v98 :: v_dual_add_f32 v23, v25, v100
	v_fmac_f32_e32 v128, 0x3f167918, v130
	v_fmac_f32_e32 v92, 0x3e9e377a, v136
	v_fmamk_f32 v153, v127, 0xbf737871, v53
	v_dual_add_f32 v19, v22, v97 :: v_dual_fmac_f32 v32, 0x3f167918, v119
	v_add_f32_e32 v21, v47, v23
	v_fmac_f32_e32 v115, 0x3f737871, v113
	s_delay_alu instid0(VALU_DEP_4)
	v_fmac_f32_e32 v153, 0x3f167918, v56
	v_fmamk_f32 v94, v122, 0xbf737871, v123
	v_add_f32_e32 v22, v24, v99
	v_fmac_f32_e32 v149, 0xbf737871, v119
	v_fmac_f32_e32 v109, 0xbf737871, v106
	v_fmac_f32_e32 v153, 0x3e9e377a, v57
	v_dual_fmac_f32 v125, 0xbf737871, v16 :: v_dual_add_f32 v16, v8, v19
	v_dual_fmac_f32 v115, 0xbf167918, v14 :: v_dual_fmac_f32 v94, 0xbf167918, v157
	v_fmamk_f32 v41, v124, 0xbf737871, v37
	v_fmac_f32_e32 v37, 0x3f737871, v124
	v_fmac_f32_e32 v30, 0xbf737871, v141
	s_delay_alu instid0(VALU_DEP_4)
	v_dual_fmac_f32 v115, 0x3e9e377a, v15 :: v_dual_fmac_f32 v44, 0x3e9e377a, v120
	v_dual_add_f32 v1, v26, v17 :: v_dual_fmac_f32 v112, 0x3e9e377a, v114
	v_dual_sub_f32 v14, v26, v17 :: v_dual_sub_f32 v15, v27, v18
	v_dual_fmac_f32 v94, 0x3e9e377a, v131 :: v_dual_add_f32 v17, v28, v20
	v_sub_f32_e32 v18, v8, v19
	v_dual_sub_f32 v19, v28, v20 :: v_dual_add_f32 v20, v46, v22
	v_dual_fmac_f32 v149, 0x3f167918, v118 :: v_dual_fmac_f32 v96, 0x3f167918, v161
	v_fmac_f32_e32 v4, 0x3e9e377a, v116
	v_fmamk_f32 v95, v157, 0x3f737871, v50
	v_dual_fmac_f32 v50, 0xbf737871, v157 :: v_dual_fmamk_f32 v151, v146, 0xbf737871, v31
	v_fmac_f32_e32 v31, 0x3f737871, v146
	v_fmac_f32_e32 v149, 0x3e9e377a, v121
	v_dual_fmac_f32 v37, 0xbf167918, v36 :: v_dual_fmac_f32 v140, 0xbf167918, v150
	v_fmamk_f32 v24, v56, 0x3f737871, v111
	s_delay_alu instid0(VALU_DEP_4) | instskip(NEXT) | instid1(VALU_DEP_3)
	v_fmac_f32_e32 v31, 0xbf167918, v34
	v_dual_fmac_f32 v128, 0x3e9e377a, v35 :: v_dual_fmac_f32 v37, 0x3e9e377a, v126
	v_dual_fmac_f32 v109, 0x3f167918, v101 :: v_dual_fmac_f32 v50, 0x3f167918, v122
	s_delay_alu instid0(VALU_DEP_3) | instskip(SKIP_4) | instid1(VALU_DEP_4)
	v_fmac_f32_e32 v31, 0x3e9e377a, v148
	v_fmamk_f32 v29, v161, 0xbf737871, v51
	v_fmac_f32_e32 v51, 0x3f737871, v161
	v_fmac_f32_e32 v24, 0x3f167918, v127
	v_dual_sub_f32 v22, v46, v22 :: v_dual_fmac_f32 v41, 0x3f167918, v36
	v_dual_fmac_f32 v138, 0x3f167918, v141 :: v_dual_fmac_f32 v29, 0x3f167918, v54
	s_delay_alu instid0(VALU_DEP_3) | instskip(SKIP_4) | instid1(VALU_DEP_4)
	v_dual_sub_f32 v23, v47, v23 :: v_dual_fmac_f32 v24, 0x3e9e377a, v117
	v_mul_f32_e32 v47, 0xbf737871, v37
	v_fmac_f32_e32 v51, 0xbf167918, v54
	v_dual_fmac_f32 v109, 0x3e9e377a, v110 :: v_dual_fmac_f32 v38, 0x3e9e377a, v121
	v_dual_fmac_f32 v41, 0x3e9e377a, v126 :: v_dual_fmac_f32 v50, 0x3e9e377a, v137
	v_fmac_f32_e32 v47, 0xbe9e377a, v149
	v_fmac_f32_e32 v133, 0xbf737871, v54
	v_mul_f32_e32 v54, 0xbe9e377a, v37
	v_fmamk_f32 v45, v36, 0x3f737871, v33
	v_dual_fmac_f32 v33, 0xbf737871, v36 :: v_dual_mul_f32 v46, 0xbf737871, v41
	v_fmamk_f32 v48, v152, 0xbf737871, v55
	s_delay_alu instid0(VALU_DEP_4) | instskip(NEXT) | instid1(VALU_DEP_4)
	v_fmac_f32_e32 v54, 0x3f737871, v149
	v_dual_fmac_f32 v45, 0x3f167918, v124 :: v_dual_fmac_f32 v30, 0x3f167918, v150
	s_delay_alu instid0(VALU_DEP_3) | instskip(NEXT) | instid1(VALU_DEP_2)
	v_dual_fmac_f32 v33, 0xbf167918, v124 :: v_dual_fmac_f32 v48, 0xbf167918, v165
	v_dual_fmac_f32 v58, 0x3e9e377a, v107 :: v_dual_fmac_f32 v45, 0x3e9e377a, v5
	v_mul_f32_e32 v110, 0xbf737871, v153
	v_fmac_f32_e32 v125, 0xbf167918, v135
	v_dual_fmac_f32 v93, 0x3e9e377a, v116 :: v_dual_fmac_f32 v46, 0x3e9e377a, v38
	v_fmac_f32_e32 v48, 0x3e9e377a, v163
	v_mul_f32_e32 v8, 0xbf167918, v45
	s_delay_alu instid0(VALU_DEP_4)
	v_fmac_f32_e32 v125, 0x3e9e377a, v136
	v_mul_f32_e32 v41, 0x3e9e377a, v41
	v_fmac_f32_e32 v53, 0x3f737871, v127
	v_dual_fmac_f32 v51, 0x3e9e377a, v134 :: v_dual_fmac_f32 v90, 0x3e9e377a, v35
	v_mul_f32_e32 v35, 0x3f167918, v44
	v_mul_f32_e32 v107, 0x3f167918, v48
	v_fmac_f32_e32 v8, 0x3f4f1bbd, v44
	v_fmac_f32_e32 v41, 0x3f737871, v38
	v_dual_add_f32 v26, v39, v46 :: v_dual_fmac_f32 v43, 0x3f167918, v113
	v_fmac_f32_e32 v144, 0x3f167918, v146
	v_fmac_f32_e32 v145, 0xbf737871, v34
	v_dual_fmac_f32 v33, 0x3e9e377a, v5 :: v_dual_fmac_f32 v140, 0x3e9e377a, v143
	v_fmac_f32_e32 v53, 0xbf167918, v56
	v_fmac_f32_e32 v43, 0x3e9e377a, v114
	;; [unrolled: 1-line block ×3, first 2 shown]
	v_mul_f32_e32 v106, 0xbf167918, v24
	v_fmac_f32_e32 v35, 0x3f4f1bbd, v45
	v_fmac_f32_e32 v107, 0x3f4f1bbd, v24
	v_dual_add_f32 v24, v42, v8 :: v_dual_add_f32 v27, v40, v41
	v_dual_add_f32 v28, v109, v47 :: v_dual_fmac_f32 v133, 0xbf167918, v161
	v_dual_sub_f32 v37, v42, v8 :: v_dual_sub_f32 v42, v115, v54
	v_fmac_f32_e32 v151, 0x3f167918, v34
	v_mul_f32_e32 v34, 0xbe9e377a, v51
	v_fmamk_f32 v91, v130, 0x3f737871, v3
	v_dual_fmac_f32 v3, 0xbf737871, v130 :: v_dual_mul_f32 v98, 0xbf737871, v29
	v_fmac_f32_e32 v52, 0x3f167918, v152
	v_dual_fmac_f32 v53, 0x3e9e377a, v57 :: v_dual_fmac_f32 v32, 0x3e9e377a, v120
	s_delay_alu instid0(VALU_DEP_3) | instskip(SKIP_1) | instid1(VALU_DEP_4)
	v_fmac_f32_e32 v3, 0x3f167918, v129
	v_mul_f32_e32 v51, 0xbf737871, v51
	v_fmac_f32_e32 v52, 0x3e9e377a, v159
	s_delay_alu instid0(VALU_DEP_4)
	v_mul_f32_e32 v97, 0xbf737871, v53
	v_mul_f32_e32 v36, 0xbe9e377a, v53
	;; [unrolled: 1-line block ×4, first 2 shown]
	v_fmac_f32_e32 v34, 0x3f737871, v50
	v_dual_fmac_f32 v3, 0x3e9e377a, v132 :: v_dual_fmac_f32 v144, 0x3e9e377a, v147
	v_fmac_f32_e32 v133, 0x3e9e377a, v162
	v_fmac_f32_e32 v53, 0xbf4f1bbd, v32
	;; [unrolled: 1-line block ×4, first 2 shown]
	v_sub_f32_e32 v32, v4, v34
	v_dual_fmac_f32 v95, 0xbf167918, v122 :: v_dual_mul_f32 v100, 0xbf167918, v133
	v_mul_f32_e32 v99, 0x3e9e377a, v29
	v_dual_fmac_f32 v106, 0x3f4f1bbd, v48 :: v_dual_add_f32 v25, v43, v35
	s_delay_alu instid0(VALU_DEP_3)
	v_dual_fmac_f32 v95, 0x3e9e377a, v137 :: v_dual_lshlrev_b32 v0, 3, v0
	v_fmac_f32_e32 v97, 0xbe9e377a, v52
	v_dual_fmac_f32 v123, 0x3f737871, v122 :: v_dual_fmac_f32 v36, 0x3f737871, v52
	v_dual_add_f32 v5, v4, v34 :: v_dual_add_f32 v4, v3, v51
	v_fmac_f32_e32 v49, 0xbf167918, v152
	v_fmac_f32_e32 v96, 0x3e9e377a, v162
	;; [unrolled: 1-line block ×7, first 2 shown]
	v_dual_fmac_f32 v91, 0xbf167918, v129 :: v_dual_mul_f32 v56, 0xbf167918, v96
	v_fmac_f32_e32 v138, 0x3e9e377a, v142
	s_delay_alu instid0(VALU_DEP_4)
	v_dual_fmac_f32 v110, 0x3e9e377a, v49 :: v_dual_add_f32 v29, v115, v54
	v_dual_sub_f32 v38, v43, v35 :: v_dual_fmac_f32 v139, 0xbf167918, v141
	v_add_f32_e32 v52, v93, v99
	v_fmac_f32_e32 v111, 0xbf167918, v127
	v_sub_f32_e32 v54, v93, v99
	v_fmac_f32_e32 v123, 0x3e9e377a, v131
	v_mul_f32_e32 v57, 0x3f167918, v94
	v_mul_f32_e32 v113, 0x3e9e377a, v153
	v_fmac_f32_e32 v111, 0x3e9e377a, v117
	v_fmac_f32_e32 v56, 0x3f4f1bbd, v94
	v_dual_sub_f32 v39, v39, v46 :: v_dual_sub_f32 v46, v112, v33
	v_add_f32_e32 v94, v140, v110
	v_fmac_f32_e32 v139, 0x3e9e377a, v142
	v_fmac_f32_e32 v55, 0x3f167918, v165
	v_mul_f32_e32 v114, 0xbf167918, v111
	v_fmac_f32_e32 v57, 0x3f4f1bbd, v96
	v_fmac_f32_e32 v98, 0x3e9e377a, v95
	;; [unrolled: 1-line block ×3, first 2 shown]
	v_dual_sub_f32 v40, v40, v41 :: v_dual_sub_f32 v41, v109, v47
	v_add_f32_e32 v47, v90, v56
	v_dual_sub_f32 v49, v90, v56 :: v_dual_add_f32 v90, v139, v106
	v_fmac_f32_e32 v55, 0x3e9e377a, v163
	v_mul_f32_e32 v101, 0xbf4f1bbd, v133
	v_mul_f32_e32 v111, 0xbf4f1bbd, v111
	v_mul_lo_u16 v154, v87, 10
	v_dual_fmac_f32 v91, 0x3e9e377a, v132 :: v_dual_fmac_f32 v30, 0x3e9e377a, v143
	v_fmac_f32_e32 v114, 0xbf4f1bbd, v55
	v_fmac_f32_e32 v101, 0x3f167918, v123
	;; [unrolled: 1-line block ×5, first 2 shown]
	s_delay_alu instid0(VALU_DEP_4) | instskip(NEXT) | instid1(VALU_DEP_4)
	v_dual_fmac_f32 v111, 0x3f167918, v55 :: v_dual_add_f32 v56, v125, v101
	v_fmac_f32_e32 v145, 0x3e9e377a, v147
	v_add_f32_e32 v43, v58, v53
	v_add_f32_e32 v44, v112, v33
	v_sub_f32_e32 v45, v58, v53
	global_wb scope:SCOPE_SE
	s_barrier_signal -1
	s_barrier_wait -1
	global_inv scope:SCOPE_SE
	v_add_f32_e32 v34, v31, v36
	v_sub_f32_e32 v36, v31, v36
	v_dual_sub_f32 v31, v3, v51 :: v_dual_add_f32 v48, v92, v57
	v_dual_sub_f32 v50, v92, v57 :: v_dual_add_f32 v51, v91, v98
	v_sub_f32_e32 v53, v91, v98
	v_add_f32_e32 v55, v128, v100
	v_dual_sub_f32 v57, v128, v100 :: v_dual_sub_f32 v58, v125, v101
	v_add_f32_e32 v33, v30, v97
	v_sub_f32_e32 v35, v30, v97
	v_dual_add_f32 v91, v144, v107 :: v_dual_sub_f32 v92, v139, v106
	v_sub_f32_e32 v93, v144, v107
	v_dual_add_f32 v95, v151, v113 :: v_dual_sub_f32 v96, v140, v110
	v_dual_sub_f32 v97, v151, v113 :: v_dual_add_f32 v98, v138, v114
	v_dual_add_f32 v99, v145, v111 :: v_dual_sub_f32 v100, v138, v114
	v_sub_f32_e32 v101, v145, v111
	ds_store_2addr_b64 v7, v[1:2], v[24:25] offset1:1
	ds_store_2addr_b64 v7, v[26:27], v[28:29] offset0:2 offset1:3
	ds_store_2addr_b64 v7, v[43:44], v[14:15] offset0:4 offset1:5
	ds_store_2addr_b64 v7, v[37:38], v[39:40] offset0:6 offset1:7
	ds_store_2addr_b64 v7, v[41:42], v[45:46] offset0:8 offset1:9
	ds_store_2addr_b64 v9, v[16:17], v[47:48] offset1:1
	ds_store_2addr_b64 v10, v[51:52], v[4:5] offset1:1
	;; [unrolled: 1-line block ×10, first 2 shown]
	v_sub_nc_u16 v1, v84, v154
	v_and_b32_e32 v2, 0xffff, v82
	v_and_b32_e32 v3, 0xffff, v81
	v_mul_lo_u16 v108, v86, 10
	global_wb scope:SCOPE_SE
	s_wait_dscnt 0x0
	v_and_b32_e32 v95, 0xffff, v1
	v_mul_u32_u24_e32 v1, 0xcccd, v2
	v_mul_u32_u24_e32 v2, 0xcccd, v3
	v_sub_nc_u16 v4, v80, v108
	s_barrier_signal -1
	v_lshlrev_b32_e32 v3, 5, v95
	v_lshrrev_b32_e32 v91, 19, v1
	v_lshrrev_b32_e32 v90, 19, v2
	v_and_b32_e32 v94, 0xffff, v4
	s_barrier_wait -1
	global_inv scope:SCOPE_SE
	v_mul_lo_u16 v2, v91, 10
	v_mul_lo_u16 v4, v90, 10
	s_clause 0x3
	global_load_b128 v[16:19], v3, s[8:9]
	global_load_b128 v[28:31], v3, s[8:9] offset:16
	global_load_b128 v[48:51], v167, s[8:9]
	global_load_b128 v[40:43], v167, s[8:9] offset:16
	v_sub_nc_u16 v2, v82, v2
	v_sub_nc_u16 v4, v81, v4
	v_lshlrev_b32_e32 v1, 5, v94
	s_clause 0x1
	global_load_b128 v[8:11], v155, s[8:9]
	global_load_b128 v[44:47], v155, s[8:9] offset:16
	v_and_b32_e32 v93, 0xffff, v2
	v_and_b32_e32 v92, 0xffff, v4
	s_clause 0x1
	global_load_b128 v[20:23], v1, s[8:9]
	global_load_b128 v[32:35], v1, s[8:9] offset:16
	v_lshlrev_b32_e32 v1, 5, v93
	v_lshlrev_b32_e32 v2, 5, v92
	s_clause 0x3
	global_load_b128 v[36:39], v1, s[8:9]
	global_load_b128 v[24:27], v2, s[8:9]
	global_load_b128 v[12:15], v1, s[8:9] offset:16
	global_load_b128 v[56:59], v2, s[8:9] offset:16
	v_and_b32_e32 v1, 0xffff, v6
	ds_load_2addr_b64 v[97:100], v61 offset0:42 offset1:177
	v_mul_u32_u24_e32 v1, 0x190, v1
	s_delay_alu instid0(VALU_DEP_1)
	v_add3_u32 v96, 0, v1, v0
	ds_load_2addr_b64 v[101:104], v68 offset0:84 offset1:219
	ds_load_2addr_b64 v[105:108], v67 offset0:62 offset1:197
	;; [unrolled: 1-line block ×11, first 2 shown]
	ds_load_2addr_b64 v[52:55], v66 offset1:135
	ds_load_2addr_b64 v[4:7], v72 offset0:14 offset1:149
	ds_load_2addr_b64 v[0:3], v76 offset0:28 offset1:163
	global_wb scope:SCOPE_SE
	s_wait_loadcnt_dscnt 0x0
	s_barrier_signal -1
	s_barrier_wait -1
	global_inv scope:SCOPE_SE
	v_mul_f32_e32 v153, v114, v17
	v_dual_mul_f32 v17, v113, v17 :: v_dual_mul_f32 v148, v104, v51
	v_mul_f32_e32 v152, v112, v43
	v_mul_f32_e32 v43, v111, v43
	s_delay_alu instid0(VALU_DEP_4) | instskip(NEXT) | instid1(VALU_DEP_4)
	v_fmac_f32_e32 v153, v113, v16
	v_fma_f32 v16, v114, v16, -v17
	v_mul_f32_e32 v151, v108, v41
	v_mul_f32_e32 v41, v107, v41
	s_delay_alu instid0(VALU_DEP_4) | instskip(NEXT) | instid1(VALU_DEP_4)
	v_dual_mul_f32 v145, v9, v98 :: v_dual_add_f32 v168, v4, v153
	v_add_f32_e32 v172, v5, v16
	s_delay_alu instid0(VALU_DEP_4) | instskip(NEXT) | instid1(VALU_DEP_4)
	v_fmac_f32_e32 v151, v107, v40
	v_fma_f32 v40, v108, v40, -v41
	v_mul_f32_e32 v51, v103, v51
	v_dual_mul_f32 v9, v9, v97 :: v_dual_mul_f32 v146, v102, v11
	v_dual_mul_f32 v11, v101, v11 :: v_dual_fmac_f32 v148, v103, v50
	s_delay_alu instid0(VALU_DEP_3)
	v_fma_f32 v50, v104, v50, -v51
	v_mul_f32_e32 v103, v134, v39
	v_mul_f32_e32 v104, v142, v15
	;; [unrolled: 1-line block ×4, first 2 shown]
	v_dual_fmac_f32 v146, v101, v10 :: v_dual_mul_f32 v41, v139, v57
	v_mul_f32_e32 v150, v110, v47
	s_delay_alu instid0(VALU_DEP_4)
	v_fma_f32 v108, v142, v14, -v15
	v_fmac_f32_e32 v145, v8, v97
	v_fma_f32 v97, v8, v98, -v9
	v_fma_f32 v98, v102, v10, -v11
	v_mul_f32_e32 v102, v122, v29
	v_mul_f32_e32 v29, v121, v29
	;; [unrolled: 1-line block ×3, first 2 shown]
	v_fma_f32 v57, v112, v42, -v43
	v_fmac_f32_e32 v103, v133, v38
	v_mul_f32_e32 v19, v117, v19
	v_mul_f32_e32 v101, v120, v23
	v_dual_mul_f32 v23, v119, v23 :: v_dual_fmac_f32 v102, v121, v28
	v_fma_f32 v28, v122, v28, -v29
	s_delay_alu instid0(VALU_DEP_4) | instskip(SKIP_3) | instid1(VALU_DEP_4)
	v_fma_f32 v43, v118, v18, -v19
	v_dual_mul_f32 v47, v109, v47 :: v_dual_sub_f32 v170, v50, v40
	v_dual_mul_f32 v11, v144, v59 :: v_dual_fmac_f32 v150, v109, v46
	v_fmac_f32_e32 v10, v139, v56
	v_sub_f32_e32 v176, v43, v28
	s_delay_alu instid0(VALU_DEP_4)
	v_fma_f32 v46, v110, v46, -v47
	v_fma_f32 v47, v120, v22, -v23
	v_fmac_f32_e32 v11, v143, v58
	v_mul_f32_e32 v149, v106, v45
	v_sub_f32_e32 v23, v146, v145
	v_mul_f32_e32 v45, v105, v45
	v_fmac_f32_e32 v154, v117, v18
	s_delay_alu instid0(VALU_DEP_4) | instskip(SKIP_1) | instid1(VALU_DEP_4)
	v_dual_sub_f32 v166, v11, v10 :: v_dual_fmac_f32 v149, v105, v44
	v_mul_f32_e32 v155, v116, v21
	v_fma_f32 v44, v106, v44, -v45
	v_mul_f32_e32 v9, v132, v25
	v_dual_mul_f32 v25, v131, v25 :: v_dual_mul_f32 v8, v136, v27
	v_fmac_f32_e32 v152, v111, v42
	v_fma_f32 v109, v140, v56, -v41
	v_dual_sub_f32 v56, v97, v46 :: v_dual_sub_f32 v111, v98, v44
	v_mul_f32_e32 v45, v138, v13
	v_mul_f32_e32 v13, v137, v13
	v_dual_sub_f32 v118, v153, v154 :: v_dual_mul_f32 v21, v115, v21
	v_fmac_f32_e32 v9, v131, v24
	v_fma_f32 v106, v132, v24, -v25
	v_fmac_f32_e32 v8, v135, v26
	v_fma_f32 v25, v138, v12, -v13
	v_mul_f32_e32 v147, v100, v49
	v_fma_f32 v18, v116, v20, -v21
	v_add_f32_e32 v21, v52, v145
	v_mul_f32_e32 v49, v99, v49
	v_fmac_f32_e32 v45, v137, v12
	v_fmac_f32_e32 v104, v141, v14
	v_sub_f32_e32 v12, v145, v146
	v_add_f32_e32 v14, v146, v149
	v_sub_f32_e32 v112, v146, v149
	v_sub_f32_e32 v162, v108, v25
	;; [unrolled: 1-line block ×3, first 2 shown]
	v_fmac_f32_e32 v147, v99, v48
	v_sub_f32_e32 v165, v9, v8
	v_mul_f32_e32 v99, v124, v33
	v_dual_mul_f32 v33, v123, v33 :: v_dual_add_f32 v146, v21, v146
	v_fma_f32 v48, v100, v48, -v49
	v_mul_f32_e32 v100, v130, v37
	v_mul_f32_e32 v37, v129, v37
	s_delay_alu instid0(VALU_DEP_4)
	v_fma_f32 v29, v124, v32, -v33
	v_mul_f32_e32 v27, v135, v27
	v_sub_f32_e32 v13, v150, v149
	v_mul_f32_e32 v51, v128, v35
	v_fma_f32 v19, v130, v36, -v37
	v_mul_f32_e32 v42, v143, v59
	v_fma_f32 v107, v136, v26, -v27
	v_add_f32_e32 v169, v12, v13
	v_fma_f32 v12, -0.5, v14, v52
	v_sub_f32_e32 v182, v19, v108
	v_add_f32_e32 v26, v145, v150
	v_fmac_f32_e32 v100, v129, v36
	v_mul_f32_e32 v39, v133, v39
	v_fma_f32 v58, v144, v58, -v42
	v_add_f32_e32 v137, v47, v29
	v_fma_f32 v14, -0.5, v26, v52
	v_add_f32_e32 v26, v1, v19
	v_mul_f32_e32 v35, v127, v35
	v_sub_f32_e32 v138, v18, v47
	v_sub_f32_e32 v144, v100, v103
	v_dual_sub_f32 v156, v104, v45 :: v_dual_mul_f32 v49, v126, v31
	s_delay_alu instid0(VALU_DEP_4)
	v_fma_f32 v105, v128, v34, -v35
	v_fmac_f32_e32 v155, v115, v20
	v_sub_f32_e32 v20, v46, v44
	v_sub_f32_e32 v116, v40, v57
	;; [unrolled: 1-line block ×4, first 2 shown]
	v_mul_f32_e32 v31, v125, v31
	v_sub_f32_e32 v113, v50, v48
	v_sub_f32_e32 v181, v47, v29
	v_fmac_f32_e32 v49, v125, v30
	v_fma_f32 v21, -0.5, v137, v7
	v_fma_f32 v59, v126, v30, -v31
	v_fma_f32 v30, v134, v38, -v39
	v_dual_sub_f32 v17, v97, v98 :: v_dual_add_f32 v42, v50, v40
	v_dual_add_f32 v114, v48, v57 :: v_dual_add_f32 v113, v113, v116
	s_delay_alu instid0(VALU_DEP_3) | instskip(SKIP_1) | instid1(VALU_DEP_4)
	v_dual_sub_f32 v116, v30, v25 :: v_dual_fmac_f32 v101, v119, v22
	v_add_f32_e32 v22, v53, v97
	v_add_f32_e32 v171, v17, v20
	;; [unrolled: 1-line block ×3, first 2 shown]
	v_fmac_f32_e32 v51, v127, v34
	v_dual_sub_f32 v27, v98, v97 :: v_dual_add_f32 v34, v55, v48
	v_fma_f32 v17, -0.5, v42, v55
	v_fmac_f32_e32 v55, -0.5, v114
	v_add_f32_e32 v15, v98, v44
	v_add_f32_e32 v98, v22, v98
	v_fma_f32 v22, -0.5, v143, v0
	v_dual_fmac_f32 v99, v123, v32 :: v_dual_sub_f32 v120, v49, v102
	v_dual_sub_f32 v124, v16, v43 :: v_dual_sub_f32 v127, v59, v28
	v_sub_f32_e32 v132, v155, v101
	s_delay_alu instid0(VALU_DEP_3)
	v_dual_sub_f32 v134, v51, v99 :: v_dual_add_f32 v31, v97, v46
	v_add_f32_e32 v35, v148, v151
	v_sub_f32_e32 v38, v152, v151
	v_add_f32_e32 v130, v7, v18
	v_add_f32_e32 v118, v118, v120
	v_add_f32_e32 v120, v124, v127
	v_dual_add_f32 v124, v132, v134 :: v_dual_add_f32 v33, v54, v147
	v_sub_f32_e32 v36, v147, v148
	v_add_f32_e32 v126, v16, v59
	v_fma_f32 v13, -0.5, v15, v53
	v_fma_f32 v15, -0.5, v31, v53
	v_sub_f32_e32 v53, v154, v102
	v_sub_f32_e32 v125, v43, v16
	;; [unrolled: 1-line block ×3, first 2 shown]
	v_add_f32_e32 v178, v36, v38
	v_fma_f32 v16, -0.5, v35, v54
	v_add_f32_e32 v31, v33, v148
	v_dual_add_f32 v33, v168, v154 :: v_dual_add_f32 v36, v130, v47
	v_sub_f32_e32 v32, v44, v46
	v_sub_f32_e32 v97, v48, v50
	v_add_f32_e32 v117, v154, v102
	v_sub_f32_e32 v121, v102, v49
	v_sub_f32_e32 v142, v29, v105
	v_add_f32_e32 v48, v98, v44
	v_add_f32_e32 v98, v33, v102
	v_dual_add_f32 v102, v36, v29 :: v_dual_fmamk_f32 v29, v173, 0xbf737871, v16
	v_dual_fmac_f32 v16, 0x3f737871, v173 :: v_dual_add_f32 v41, v147, v152
	v_sub_f32_e32 v167, v148, v151
	v_dual_add_f32 v175, v27, v32 :: v_dual_add_f32 v32, v34, v50
	s_delay_alu instid0(VALU_DEP_3) | instskip(NEXT) | instid1(VALU_DEP_4)
	v_fmac_f32_e32 v16, 0x3f167918, v170
	v_fma_f32 v54, -0.5, v41, v54
	v_dual_sub_f32 v110, v145, v150 :: v_dual_sub_f32 v37, v148, v147
	v_dual_add_f32 v123, v43, v28 :: v_dual_add_f32 v140, v18, v105
	v_sub_f32_e32 v160, v19, v30
	v_sub_f32_e32 v147, v147, v152
	v_add_f32_e32 v50, v31, v151
	v_dual_add_f32 v52, v32, v40 :: v_dual_fmamk_f32 v31, v170, 0x3f737871, v54
	v_fmac_f32_e32 v54, 0xbf737871, v170
	v_fmamk_f32 v32, v167, 0xbf737871, v55
	v_dual_sub_f32 v24, v149, v150 :: v_dual_add_f32 v161, v19, v108
	v_dual_add_f32 v132, v160, v162 :: v_dual_fmamk_f32 v41, v182, 0xbf737871, v22
	v_dual_fmac_f32 v22, 0x3f737871, v182 :: v_dual_sub_f32 v179, v101, v99
	v_dual_fmac_f32 v54, 0x3f167918, v173 :: v_dual_sub_f32 v163, v30, v19
	v_fma_f32 v19, -0.5, v123, v5
	v_fma_f32 v5, -0.5, v126, v5
	v_sub_f32_e32 v123, v106, v58
	v_dual_fmac_f32 v7, -0.5, v140 :: v_dual_fmac_f32 v32, 0x3f167918, v147
	v_dual_add_f32 v131, v101, v99 :: v_dual_fmac_f32 v22, 0x3f167918, v116
	v_dual_add_f32 v158, v100, v104 :: v_dual_add_f32 v159, v30, v25
	v_fmac_f32_e32 v16, 0x3e9e377a, v178
	v_add_f32_e32 v27, v8, v10
	v_add_f32_e32 v26, v26, v30
	v_fmamk_f32 v30, v147, 0x3f737871, v17
	v_dual_fmamk_f32 v36, v53, 0xbf737871, v5 :: v_dual_sub_f32 v39, v151, v152
	v_dual_fmac_f32 v32, 0x3e9e377a, v113 :: v_dual_sub_f32 v115, v57, v40
	s_delay_alu instid0(VALU_DEP_3)
	v_fmac_f32_e32 v30, 0x3f167918, v167
	v_fmamk_f32 v40, v179, 0xbf737871, v7
	v_add_f32_e32 v174, v23, v24
	v_add_f32_e32 v24, v0, v100
	;; [unrolled: 1-line block ×3, first 2 shown]
	v_fma_f32 v20, -0.5, v131, v6
	v_fma_f32 v0, -0.5, v158, v0
	v_add_f32_e32 v46, v48, v46
	v_add_f32_e32 v48, v52, v57
	;; [unrolled: 1-line block ×3, first 2 shown]
	v_fma_f32 v24, -0.5, v27, v2
	v_add_f32_e32 v97, v97, v115
	v_sub_f32_e32 v115, v18, v105
	v_dual_sub_f32 v145, v103, v100 :: v_dual_add_f32 v34, v172, v43
	v_fmamk_f32 v43, v116, 0x3f737871, v0
	v_fmac_f32_e32 v0, 0xbf737871, v116
	v_add_f32_e32 v52, v102, v105
	v_sub_f32_e32 v114, v103, v45
	v_add_f32_e32 v103, v37, v45
	v_fmamk_f32 v37, v115, 0xbf737871, v20
	v_fmac_f32_e32 v20, 0x3f737871, v115
	v_add_f32_e32 v136, v155, v51
	v_add_f32_e32 v129, v6, v155
	v_sub_f32_e32 v139, v47, v18
	v_fma_f32 v18, -0.5, v117, v4
	v_sub_f32_e32 v100, v100, v104
	v_fma_f32 v6, -0.5, v136, v6
	v_fma_f32 v23, -0.5, v159, v1
	v_fmac_f32_e32 v20, 0x3f167918, v181
	v_fmamk_f32 v33, v177, 0xbf737871, v18
	v_fmac_f32_e32 v18, 0x3f737871, v177
	v_fmamk_f32 v39, v181, 0x3f737871, v6
	v_fmac_f32_e32 v6, 0xbf737871, v181
	v_add_f32_e32 v122, v153, v49
	v_add_f32_e32 v35, v129, v101
	v_dual_sub_f32 v119, v154, v153 :: v_dual_fmac_f32 v18, 0x3f167918, v176
	v_fmamk_f32 v27, v56, 0xbf737871, v12
	s_delay_alu instid0(VALU_DEP_4) | instskip(SKIP_3) | instid1(VALU_DEP_4)
	v_fma_f32 v4, -0.5, v122, v4
	v_fmac_f32_e32 v12, 0x3f737871, v56
	v_dual_fmamk_f32 v42, v100, 0x3f737871, v23 :: v_dual_sub_f32 v135, v99, v51
	v_add_f32_e32 v99, v35, v99
	v_fmamk_f32 v35, v176, 0x3f737871, v4
	v_fmac_f32_e32 v4, 0xbf737871, v176
	v_fmac_f32_e32 v12, 0x3f167918, v111
	v_dual_fmac_f32 v6, 0x3f167918, v115 :: v_dual_add_f32 v119, v119, v121
	v_dual_sub_f32 v133, v101, v155 :: v_dual_fmac_f32 v0, 0x3f167918, v182
	s_delay_alu instid0(VALU_DEP_4) | instskip(SKIP_3) | instid1(VALU_DEP_4)
	v_fmac_f32_e32 v4, 0x3f167918, v177
	v_fmac_f32_e32 v42, 0x3f167918, v114
	v_dual_sub_f32 v128, v28, v59 :: v_dual_add_f32 v101, v34, v28
	v_fmamk_f32 v28, v110, 0x3f737871, v13
	v_fmac_f32_e32 v4, 0x3e9e377a, v119
	v_fmac_f32_e32 v12, 0x3e9e377a, v169
	v_fma_f32 v1, -0.5, v161, v1
	v_dual_fmac_f32 v42, 0x3e9e377a, v132 :: v_dual_add_f32 v129, v26, v25
	v_fmamk_f32 v25, v111, 0x3f737871, v14
	v_fmac_f32_e32 v14, 0xbf737871, v111
	s_delay_alu instid0(VALU_DEP_4)
	v_fmamk_f32 v44, v114, 0xbf737871, v1
	v_fmamk_f32 v26, v112, 0xbf737871, v15
	v_fmac_f32_e32 v15, 0x3f737871, v112
	v_add_f32_e32 v47, v146, v149
	v_fmac_f32_e32 v27, 0xbf167918, v111
	v_dual_fmac_f32 v44, 0x3f167918, v100 :: v_dual_sub_f32 v155, v155, v51
	v_add_f32_e32 v126, v138, v141
	v_fmac_f32_e32 v28, 0x3f167918, v112
	v_fmac_f32_e32 v20, 0x3e9e377a, v124
	;; [unrolled: 1-line block ×3, first 2 shown]
	v_fmamk_f32 v38, v155, 0x3f737871, v21
	v_fmac_f32_e32 v14, 0x3f167918, v56
	v_fmac_f32_e32 v26, 0x3f167918, v110
	;; [unrolled: 1-line block ×4, first 2 shown]
	v_dual_fmac_f32 v38, 0x3f167918, v179 :: v_dual_sub_f32 v153, v153, v49
	v_fmac_f32_e32 v25, 0x3e9e377a, v174
	v_fmac_f32_e32 v14, 0x3e9e377a, v174
	v_fmac_f32_e32 v54, 0x3e9e377a, v180
	s_delay_alu instid0(VALU_DEP_4)
	v_fmac_f32_e32 v38, 0x3e9e377a, v126
	v_fmamk_f32 v34, v153, 0x3f737871, v19
	v_fmac_f32_e32 v36, 0x3f167918, v153
	v_fmac_f32_e32 v13, 0xbf737871, v110
	v_fmac_f32_e32 v19, 0xbf737871, v153
	v_fmac_f32_e32 v18, 0x3e9e377a, v118
	v_fmac_f32_e32 v34, 0x3f167918, v53
	v_add_f32_e32 v122, v125, v128
	v_add_f32_e32 v125, v133, v135
	v_dual_fmac_f32 v17, 0xbf737871, v147 :: v_dual_add_f32 v128, v144, v156
	v_fmac_f32_e32 v5, 0x3f737871, v53
	s_delay_alu instid0(VALU_DEP_4)
	v_fmac_f32_e32 v36, 0x3e9e377a, v122
	v_fmac_f32_e32 v28, 0x3e9e377a, v171
	v_dual_fmac_f32 v6, 0x3e9e377a, v125 :: v_dual_sub_f32 v157, v45, v104
	v_dual_fmac_f32 v26, 0x3e9e377a, v175 :: v_dual_add_f32 v45, v47, v150
	v_fmac_f32_e32 v15, 0x3e9e377a, v175
	ds_store_2addr_b64 v96, v[45:46], v[27:28] offset1:10
	ds_store_2addr_b64 v96, v[25:26], v[14:15] offset0:20 offset1:30
	v_sub_f32_e32 v15, v107, v109
	v_add_f32_e32 v28, v107, v109
	v_dual_fmamk_f32 v14, v123, 0xbf737871, v24 :: v_dual_add_f32 v47, v50, v152
	v_add_f32_e32 v50, v101, v59
	v_fmac_f32_e32 v30, 0x3e9e377a, v97
	v_add_f32_e32 v134, v165, v166
	s_delay_alu instid0(VALU_DEP_4) | instskip(SKIP_3) | instid1(VALU_DEP_4)
	v_fmac_f32_e32 v14, 0xbf167918, v15
	v_add_f32_e32 v117, v9, v11
	v_dual_fmac_f32 v24, 0x3f737871, v123 :: v_dual_add_f32 v121, v2, v9
	v_sub_f32_e32 v25, v8, v9
	v_dual_sub_f32 v27, v10, v11 :: v_dual_fmac_f32 v14, 0x3e9e377a, v134
	s_delay_alu instid0(VALU_DEP_4) | instskip(NEXT) | instid1(VALU_DEP_4)
	v_fma_f32 v2, -0.5, v117, v2
	v_fmac_f32_e32 v24, 0x3f167918, v15
	v_sub_f32_e32 v9, v9, v11
	v_fmac_f32_e32 v55, 0x3f737871, v167
	v_fmac_f32_e32 v13, 0xbf167918, v112
	v_fmamk_f32 v26, v15, 0x3f737871, v2
	v_fmac_f32_e32 v2, 0xbf737871, v15
	v_add_f32_e32 v15, v25, v27
	v_add_f32_e32 v133, v163, v164
	s_delay_alu instid0(VALU_DEP_4) | instskip(NEXT) | instid1(VALU_DEP_4)
	v_dual_add_f32 v25, v3, v106 :: v_dual_fmac_f32 v26, 0xbf167918, v123
	v_dual_fmac_f32 v2, 0x3f167918, v123 :: v_dual_add_f32 v27, v121, v8
	s_delay_alu instid0(VALU_DEP_3) | instskip(SKIP_1) | instid1(VALU_DEP_4)
	v_fmac_f32_e32 v44, 0x3e9e377a, v133
	v_dual_fmac_f32 v40, 0x3f167918, v155 :: v_dual_add_f32 v127, v139, v142
	v_add_f32_e32 v25, v25, v107
	v_dual_add_f32 v131, v145, v157 :: v_dual_fmac_f32 v26, 0x3e9e377a, v15
	v_dual_add_f32 v27, v27, v10 :: v_dual_fmac_f32 v2, 0x3e9e377a, v15
	s_delay_alu instid0(VALU_DEP_3) | instskip(SKIP_1) | instid1(VALU_DEP_3)
	v_add_f32_e32 v15, v25, v109
	v_fma_f32 v25, -0.5, v28, v3
	v_dual_add_f32 v28, v106, v58 :: v_dual_add_f32 v45, v27, v11
	v_sub_f32_e32 v11, v106, v107
	s_delay_alu instid0(VALU_DEP_4) | instskip(NEXT) | instid1(VALU_DEP_4)
	v_dual_sub_f32 v27, v58, v109 :: v_dual_add_f32 v46, v15, v58
	v_dual_sub_f32 v8, v8, v10 :: v_dual_fmamk_f32 v15, v9, 0x3f737871, v25
	v_fmac_f32_e32 v25, 0xbf737871, v9
	s_delay_alu instid0(VALU_DEP_3) | instskip(SKIP_1) | instid1(VALU_DEP_4)
	v_dual_fmac_f32 v3, -0.5, v28 :: v_dual_add_f32 v10, v11, v27
	v_sub_f32_e32 v11, v107, v106
	v_dual_fmac_f32 v15, 0x3f167918, v8 :: v_dual_sub_f32 v28, v109, v58
	s_delay_alu instid0(VALU_DEP_4) | instskip(NEXT) | instid1(VALU_DEP_4)
	v_fmac_f32_e32 v25, 0xbf167918, v8
	v_fmamk_f32 v27, v8, 0xbf737871, v3
	v_fmac_f32_e32 v3, 0x3f737871, v8
	v_fmac_f32_e32 v7, 0x3f737871, v179
	;; [unrolled: 1-line block ×7, first 2 shown]
	v_mul_u32_u24_e32 v8, 0x190, v88
	v_lshlrev_b32_e32 v53, 3, v89
	v_dual_fmac_f32 v25, 0x3e9e377a, v10 :: v_dual_add_f32 v10, v11, v28
	v_fmac_f32_e32 v27, 0x3f167918, v9
	v_fmac_f32_e32 v3, 0xbf167918, v9
	v_mul_u32_u24_e32 v9, 0x190, v87
	v_lshlrev_b32_e32 v11, 3, v95
	v_fmac_f32_e32 v29, 0xbf167918, v170
	v_fmac_f32_e32 v17, 0xbf167918, v167
	v_fmac_f32_e32 v33, 0xbf167918, v176
	v_fmac_f32_e32 v5, 0xbf167918, v153
	v_fmac_f32_e32 v22, 0x3e9e377a, v128
	v_fmac_f32_e32 v35, 0xbf167918, v177
	v_fmac_f32_e32 v7, 0xbf167918, v155
	v_fmac_f32_e32 v13, 0x3e9e377a, v171
	v_fmac_f32_e32 v31, 0x3e9e377a, v180
	v_dual_fmac_f32 v55, 0x3e9e377a, v113 :: v_dual_fmac_f32 v0, 0x3e9e377a, v131
	v_fmac_f32_e32 v39, 0xbf167918, v115
	v_add3_u32 v8, 0, v8, v53
	v_fmac_f32_e32 v27, 0x3e9e377a, v10
	v_fmac_f32_e32 v3, 0x3e9e377a, v10
	v_add3_u32 v9, 0, v9, v11
	v_mul_u32_u24_e32 v10, 0x190, v86
	v_lshlrev_b32_e32 v11, 3, v94
	v_fmac_f32_e32 v29, 0x3e9e377a, v178
	v_fmac_f32_e32 v17, 0x3e9e377a, v97
	v_add_f32_e32 v49, v98, v49
	v_fmac_f32_e32 v33, 0x3e9e377a, v118
	v_fmac_f32_e32 v35, 0x3e9e377a, v119
	;; [unrolled: 1-line block ×3, first 2 shown]
	v_dual_fmac_f32 v19, 0x3e9e377a, v120 :: v_dual_fmac_f32 v40, 0x3e9e377a, v127
	v_dual_fmac_f32 v7, 0x3e9e377a, v127 :: v_dual_fmac_f32 v24, 0x3e9e377a, v134
	v_fmac_f32_e32 v39, 0x3e9e377a, v125
	ds_store_b64 v96, v[12:13] offset:320
	ds_store_2addr_b64 v8, v[47:48], v[29:30] offset1:10
	ds_store_2addr_b64 v8, v[31:32], v[54:55] offset0:20 offset1:30
	ds_store_b64 v8, v[16:17] offset:320
	ds_store_2addr_b64 v9, v[49:50], v[33:34] offset1:10
	ds_store_2addr_b64 v9, v[35:36], v[4:5] offset0:20 offset1:30
	v_add3_u32 v4, 0, v10, v11
	v_lshrrev_b16 v5, 1, v83
	v_fmac_f32_e32 v21, 0xbf737871, v155
	v_fmac_f32_e32 v1, 0x3f737871, v114
	ds_store_b64 v9, v[18:19] offset:320
	v_mul_u32_u24_e32 v8, 0x190, v91
	v_lshlrev_b32_e32 v9, 3, v93
	v_and_b32_e32 v5, 0xffff, v5
	ds_store_2addr_b64 v4, v[39:40], v[6:7] offset0:20 offset1:30
	v_mul_lo_u16 v6, v85, 41
	v_fmac_f32_e32 v23, 0xbf737871, v100
	v_fmac_f32_e32 v37, 0xbf167918, v181
	;; [unrolled: 1-line block ×5, first 2 shown]
	v_add3_u32 v7, 0, v8, v9
	v_mul_u32_u24_e32 v5, 0x147b, v5
	v_lshrrev_b16 v9, 11, v6
	v_fmac_f32_e32 v41, 0xbf167918, v116
	v_fmac_f32_e32 v23, 0xbf167918, v114
	v_add_f32_e32 v51, v99, v51
	v_fmac_f32_e32 v37, 0x3e9e377a, v124
	v_fmac_f32_e32 v21, 0x3e9e377a, v126
	;; [unrolled: 1-line block ×4, first 2 shown]
	v_mul_u32_u24_e32 v10, 0x190, v90
	v_lshlrev_b32_e32 v11, 3, v92
	v_lshrrev_b32_e32 v8, 17, v5
	v_mul_lo_u16 v5, v9, 50
	v_add_f32_e32 v56, v103, v104
	v_add_f32_e32 v57, v129, v108
	v_fmac_f32_e32 v41, 0x3e9e377a, v128
	v_fmac_f32_e32 v23, 0x3e9e377a, v132
	ds_store_2addr_b64 v4, v[51:52], v[37:38] offset1:10
	ds_store_b64 v4, v[20:21] offset:320
	ds_store_2addr_b64 v7, v[56:57], v[41:42] offset1:10
	v_add3_u32 v4, 0, v10, v11
	ds_store_2addr_b64 v7, v[43:44], v[0:1] offset0:20 offset1:30
	ds_store_b64 v7, v[22:23] offset:320
	v_sub_nc_u16 v1, v60, v5
	v_lshrrev_b16 v5, 1, v84
	v_mul_lo_u16 v0, v8, 50
	ds_store_2addr_b64 v4, v[26:27], v[2:3] offset0:20 offset1:30
	v_lshrrev_b16 v2, 1, v80
	v_and_b32_e32 v41, 0xff, v1
	v_and_b32_e32 v23, 0xffff, v5
	ds_store_2addr_b64 v4, v[45:46], v[14:15] offset1:10
	v_add_nc_u32_e32 v19, 0x32a, v60
	v_and_b32_e32 v16, 0xffff, v2
	v_sub_nc_u16 v0, v83, v0
	v_mul_u32_u24_e32 v1, 0x147b, v23
	v_add_nc_u32_e32 v20, 0x3b1, v60
	ds_store_b64 v4, v[24:25] offset:320
	v_mul_u32_u24_e32 v2, 0x147b, v16
	v_and_b32_e32 v11, 0xffff, v0
	v_lshrrev_b32_e32 v40, 17, v1
	v_lshrrev_b16 v1, 1, v82
	v_lshlrev_b32_e32 v0, 4, v41
	v_lshrrev_b32_e32 v10, 17, v2
	v_lshrrev_b16 v2, 1, v81
	v_mul_lo_u16 v3, v40, 50
	v_and_b32_e32 v18, 0xffff, v1
	v_lshrrev_b16 v26, 1, v20
	v_mul_lo_u16 v1, v10, 50
	v_and_b32_e32 v17, 0xffff, v2
	v_sub_nc_u16 v12, v84, v3
	v_mul_u32_u24_e32 v13, 0x147b, v18
	v_add_nc_u32_e32 v21, 0x438, v60
	v_sub_nc_u16 v14, v80, v1
	v_mul_u32_u24_e32 v15, 0x147b, v17
	v_and_b32_e32 v58, 0xffff, v12
	v_lshrrev_b32_e32 v29, 17, v13
	v_lshlrev_b32_e32 v2, 4, v11
	v_and_b32_e32 v59, 0xffff, v14
	v_lshrrev_b32_e32 v28, 17, v15
	v_lshrrev_b16 v15, 1, v19
	v_mul_lo_u16 v13, v29, 50
	v_lshlrev_b32_e32 v12, 4, v58
	v_lshlrev_b32_e32 v22, 4, v59
	v_mul_lo_u16 v14, v28, 50
	v_and_b32_e32 v24, 0xffff, v15
	v_sub_nc_u16 v25, v82, v13
	global_wb scope:SCOPE_SE
	s_wait_dscnt 0x0
	s_barrier_signal -1
	s_barrier_wait -1
	global_inv scope:SCOPE_SE
	s_clause 0x1
	global_load_b128 v[4:7], v0, s[8:9] offset:320
	global_load_b128 v[0:3], v2, s[8:9] offset:320
	v_sub_nc_u16 v27, v81, v14
	s_clause 0x1
	global_load_b128 v[42:45], v12, s[8:9] offset:320
	global_load_b128 v[12:15], v22, s[8:9] offset:320
	v_and_b32_e32 v34, 0xffff, v25
	v_and_b32_e32 v26, 0xffff, v26
	v_mul_u32_u24_e32 v25, 0x147b, v24
	v_lshrrev_b16 v30, 1, v21
	v_add_nc_u32_e32 v22, 0x4bf, v60
	v_and_b32_e32 v37, 0xffff, v27
	v_mul_u32_u24_e32 v31, 0x147b, v26
	v_lshrrev_b32_e32 v35, 17, v25
	v_and_b32_e32 v27, 0xffff, v30
	v_lshrrev_b16 v25, 1, v22
	v_lshlrev_b32_e32 v32, 4, v34
	v_lshrrev_b32_e32 v36, 17, v31
	v_mul_lo_u16 v30, v35, 50
	v_mul_u32_u24_e32 v31, 0x147b, v27
	v_and_b32_e32 v25, 0xffff, v25
	v_lshlrev_b32_e32 v33, 4, v37
	v_mul_lo_u16 v38, v36, 50
	v_sub_nc_u16 v39, v19, v30
	v_lshrrev_b32_e32 v30, 17, v31
	v_mul_u32_u24_e32 v31, 0x147b, v25
	s_clause 0x1
	global_load_b128 v[46:49], v32, s[8:9] offset:320
	global_load_b128 v[50:53], v33, s[8:9] offset:320
	v_sub_nc_u16 v32, v20, v38
	v_and_b32_e32 v39, 0xffff, v39
	v_mul_lo_u16 v33, v30, 50
	v_lshrrev_b32_e32 v31, 17, v31
	ds_load_2addr_b64 v[97:100], v77 offset0:70 offset1:205
	v_and_b32_e32 v38, 0xffff, v32
	v_lshlrev_b32_e32 v32, 4, v39
	v_sub_nc_u16 v33, v21, v33
	v_mul_lo_u16 v85, v31, 50
	v_and_b32_e32 v9, 0xffff, v9
	v_lshlrev_b32_e32 v86, 4, v38
	global_load_b128 v[54:57], v32, s[8:9] offset:320
	v_and_b32_e32 v32, 0xffff, v33
	v_sub_nc_u16 v33, v22, v85
	v_mul_u32_u24_e32 v9, 0x4b0, v9
	global_load_b128 v[85:88], v86, s[8:9] offset:320
	v_mul_u32_u24_e32 v8, 0x4b0, v8
	v_lshlrev_b32_e32 v89, 4, v32
	v_and_b32_e32 v33, 0xffff, v33
	v_lshlrev_b32_e32 v41, 3, v41
	v_mul_u32_u24_e32 v40, 0x4b0, v40
	v_lshlrev_b32_e32 v11, 3, v11
	global_load_b128 v[89:92], v89, s[8:9] offset:320
	v_lshlrev_b32_e32 v93, 4, v33
	v_mul_u32_u24_e32 v153, 0x4b0, v10
	v_lshlrev_b32_e32 v10, 3, v58
	v_add3_u32 v58, 0, v9, v41
	v_add3_u32 v154, 0, v8, v11
	global_load_b128 v[93:96], v93, s[8:9] offset:320
	v_lshlrev_b32_e32 v34, 3, v34
	v_add3_u32 v155, 0, v40, v10
	ds_load_2addr_b64 v[101:104], v74 offset0:12 offset1:147
	ds_load_2addr_b64 v[105:108], v68 offset0:84 offset1:219
	ds_load_2addr_b64 v[109:112], v78 offset0:26 offset1:161
	ds_load_2addr_b64 v[113:116], v73 offset0:98 offset1:233
	ds_load_2addr_b64 v[117:120], v69 offset0:40 offset1:175
	ds_load_2addr_b64 v[121:124], v75 offset0:112 offset1:247
	ds_load_2addr_b64 v[125:128], v71 offset0:54 offset1:189
	ds_load_2addr_b64 v[129:132], v67 offset0:62 offset1:197
	ds_load_2addr_b64 v[133:136], v79 offset0:68 offset1:203
	ds_load_2addr_b64 v[137:140], v66 offset1:135
	ds_load_2addr_b64 v[141:144], v72 offset0:14 offset1:149
	ds_load_2addr_b64 v[145:148], v76 offset0:28 offset1:163
	;; [unrolled: 1-line block ×4, first 2 shown]
	v_lshlrev_b32_e32 v59, 3, v59
	global_wb scope:SCOPE_SE
	s_wait_loadcnt_dscnt 0x0
	s_barrier_signal -1
	s_barrier_wait -1
	global_inv scope:SCOPE_SE
	v_mul_u32_u24_e32 v29, 0x4b0, v29
	v_mul_f32_e32 v40, v5, v98
	v_mul_f32_e32 v5, v5, v97
	v_mul_f32_e32 v41, v7, v102
	v_mul_f32_e32 v7, v7, v101
	v_mul_f32_e32 v156, v100, v1
	v_mul_f32_e32 v1, v99, v1
	v_mul_f32_e32 v157, v104, v3
	v_mul_f32_e32 v3, v103, v3
	v_mul_f32_e32 v158, v106, v43
	v_mul_f32_e32 v43, v105, v43
	v_mul_f32_e32 v159, v110, v45
	v_mul_f32_e32 v45, v109, v45
	v_mul_f32_e32 v160, v108, v13
	v_fmac_f32_e32 v40, v4, v97
	v_fma_f32 v4, v4, v98, -v5
	v_fmac_f32_e32 v41, v6, v101
	v_fma_f32 v5, v6, v102, -v7
	v_dual_mul_f32 v6, v107, v13 :: v_dual_mul_f32 v97, v112, v15
	v_mul_f32_e32 v7, v111, v15
	v_fmac_f32_e32 v156, v99, v0
	v_fma_f32 v0, v100, v0, -v1
	v_fmac_f32_e32 v157, v103, v2
	v_fma_f32 v15, v104, v2, -v3
	v_mul_f32_e32 v98, v114, v47
	v_mul_f32_e32 v1, v113, v47
	;; [unrolled: 1-line block ×5, first 2 shown]
	v_dual_mul_f32 v2, v115, v51 :: v_dual_mul_f32 v51, v120, v53
	v_dual_mul_f32 v3, v119, v53 :: v_dual_fmac_f32 v158, v105, v42
	v_fma_f32 v42, v106, v42, -v43
	v_fmac_f32_e32 v159, v109, v44
	v_fma_f32 v43, v110, v44, -v45
	v_dual_fmac_f32 v160, v107, v12 :: v_dual_mul_f32 v53, v122, v55
	v_mul_f32_e32 v55, v121, v55
	v_mul_f32_e32 v99, v126, v57
	v_dual_mul_f32 v57, v125, v57 :: v_dual_mul_f32 v44, v123, v86
	v_dual_mul_f32 v100, v124, v86 :: v_dual_mul_f32 v45, v127, v88
	v_fma_f32 v6, v108, v12, -v6
	v_dual_mul_f32 v86, v128, v88 :: v_dual_fmac_f32 v97, v111, v14
	v_fma_f32 v14, v112, v14, -v7
	v_mul_f32_e32 v12, v129, v90
	v_mul_f32_e32 v88, v130, v90
	v_mul_f32_e32 v90, v134, v92
	v_mul_f32_e32 v92, v133, v92
	v_fmac_f32_e32 v98, v113, v46
	v_fma_f32 v46, v114, v46, -v1
	v_mul_f32_e32 v101, v132, v94
	v_dual_mul_f32 v7, v131, v94 :: v_dual_mul_f32 v94, v136, v96
	v_mul_f32_e32 v96, v135, v96
	v_fmac_f32_e32 v49, v115, v50
	v_fma_f32 v50, v116, v50, -v2
	v_fmac_f32_e32 v51, v119, v52
	v_fma_f32 v52, v120, v52, -v3
	;; [unrolled: 2-line block ×4, first 2 shown]
	v_fma_f32 v56, v124, v85, -v44
	v_dual_add_f32 v1, v138, v4 :: v_dual_sub_f32 v44, v4, v5
	v_dual_add_f32 v3, v4, v5 :: v_dual_add_f32 v2, v137, v40
	v_add_f32_e32 v4, v40, v41
	v_fmac_f32_e32 v100, v123, v85
	v_fma_f32 v57, v128, v87, -v45
	v_fma_f32 v85, v130, v89, -v12
	v_sub_f32_e32 v45, v40, v41
	v_add_f32_e32 v12, v0, v15
	v_dual_add_f32 v40, v156, v157 :: v_dual_fmac_f32 v47, v117, v48
	v_fma_f32 v48, v118, v48, -v13
	v_fmac_f32_e32 v86, v127, v87
	v_fmac_f32_e32 v90, v133, v91
	v_fma_f32 v87, v134, v91, -v92
	v_fmac_f32_e32 v94, v135, v95
	v_fma_f32 v91, v136, v95, -v96
	v_add_f32_e32 v13, v139, v156
	v_add_f32_e32 v95, v142, v42
	v_sub_f32_e32 v96, v42, v43
	v_add_f32_e32 v42, v42, v43
	v_dual_add_f32 v103, v158, v159 :: v_dual_fmac_f32 v88, v129, v89
	v_fma_f32 v89, v132, v93, -v7
	v_add_f32_e32 v7, v140, v0
	v_sub_f32_e32 v92, v0, v15
	v_add_f32_e32 v105, v160, v97
	v_add_f32_e32 v109, v6, v14
	v_add_f32_e32 v0, v2, v41
	v_fma_f32 v2, -0.5, v4, v137
	v_fma_f32 v3, -0.5, v3, v138
	v_fmac_f32_e32 v101, v131, v93
	v_sub_f32_e32 v93, v156, v157
	v_fma_f32 v139, -0.5, v40, v139
	v_fmac_f32_e32 v140, -0.5, v12
	v_add_f32_e32 v102, v141, v158
	v_sub_f32_e32 v104, v158, v159
	v_add_f32_e32 v4, v13, v157
	v_fma_f32 v12, -0.5, v103, v141
	v_fma_f32 v13, -0.5, v42, v142
	v_dual_add_f32 v106, v143, v160 :: v_dual_add_f32 v107, v144, v6
	v_sub_f32_e32 v108, v6, v14
	v_sub_f32_e32 v110, v160, v97
	v_add_f32_e32 v1, v1, v5
	v_fma_f32 v143, -0.5, v105, v143
	v_fmac_f32_e32 v144, -0.5, v109
	v_fmamk_f32 v40, v44, 0xbf5db3d7, v2
	v_dual_fmamk_f32 v41, v45, 0x3f5db3d7, v3 :: v_dual_fmac_f32 v2, 0x3f5db3d7, v44
	v_fmac_f32_e32 v3, 0xbf5db3d7, v45
	v_add_f32_e32 v5, v7, v15
	v_dual_add_f32 v7, v95, v43 :: v_dual_fmamk_f32 v42, v92, 0xbf5db3d7, v139
	v_fmamk_f32 v43, v93, 0x3f5db3d7, v140
	v_fmac_f32_e32 v139, 0x3f5db3d7, v92
	v_fmac_f32_e32 v140, 0xbf5db3d7, v93
	v_add_f32_e32 v6, v102, v159
	v_fmamk_f32 v44, v96, 0xbf5db3d7, v12
	v_fmamk_f32 v45, v104, 0x3f5db3d7, v13
	v_dual_add_f32 v15, v107, v14 :: v_dual_add_f32 v14, v106, v97
	v_fmac_f32_e32 v12, 0x3f5db3d7, v96
	v_fmac_f32_e32 v13, 0xbf5db3d7, v104
	ds_store_2addr_b64 v58, v[0:1], v[40:41] offset1:50
	ds_store_b64 v58, v[2:3] offset:800
	ds_store_2addr_b64 v154, v[4:5], v[42:43] offset1:50
	ds_store_b64 v154, v[139:140] offset:800
	ds_store_2addr_b64 v155, v[6:7], v[44:45] offset1:50
	v_fmamk_f32 v0, v108, 0xbf5db3d7, v143
	v_add3_u32 v58, 0, v153, v59
	v_fmamk_f32 v1, v110, 0x3f5db3d7, v144
	ds_store_b64 v155, v[12:13] offset:800
	v_add_f32_e32 v13, v50, v52
	v_add_f32_e32 v2, v98, v47
	;; [unrolled: 1-line block ×3, first 2 shown]
	ds_store_2addr_b64 v58, v[14:15], v[0:1] offset1:50
	v_add_f32_e32 v14, v148, v50
	v_add_f32_e32 v1, v146, v46
	v_dual_add_f32 v7, v49, v51 :: v_dual_fmac_f32 v148, -0.5, v13
	s_delay_alu instid0(VALU_DEP_3)
	v_dual_add_f32 v4, v145, v98 :: v_dual_add_f32 v13, v14, v52
	v_add_f32_e32 v14, v53, v99
	v_fma_f32 v0, -0.5, v2, v145
	v_sub_f32_e32 v5, v46, v48
	v_add_f32_e32 v3, v1, v48
	v_fma_f32 v1, -0.5, v6, v146
	v_sub_f32_e32 v6, v98, v47
	;; [unrolled: 3-line block ×3, first 2 shown]
	v_sub_f32_e32 v15, v49, v51
	v_sub_f32_e32 v43, v54, v55
	v_fma_f32 v14, -0.5, v14, v149
	v_add_f32_e32 v2, v4, v47
	v_fmamk_f32 v4, v5, 0xbf5db3d7, v0
	v_dual_fmac_f32 v0, 0x3f5db3d7, v5 :: v_dual_fmamk_f32 v5, v6, 0x3f5db3d7, v1
	v_fmac_f32_e32 v1, 0xbf5db3d7, v6
	v_fmamk_f32 v6, v7, 0xbf5db3d7, v147
	v_fmac_f32_e32 v147, 0x3f5db3d7, v7
	v_fmamk_f32 v7, v15, 0x3f5db3d7, v148
	v_fmac_f32_e32 v148, 0xbf5db3d7, v15
	v_dual_add_f32 v15, v54, v55 :: v_dual_fmamk_f32 v42, v43, 0xbf5db3d7, v14
	v_dual_fmac_f32 v14, 0x3f5db3d7, v43 :: v_dual_add_f32 v43, v100, v86
	v_add_f32_e32 v44, v151, v100
	s_delay_alu instid0(VALU_DEP_3)
	v_fma_f32 v15, -0.5, v15, v150
	v_sub_f32_e32 v46, v53, v99
	v_sub_f32_e32 v48, v56, v57
	v_fma_f32 v151, -0.5, v43, v151
	v_add_f32_e32 v47, v56, v57
	v_add_f32_e32 v45, v152, v56
	v_fmamk_f32 v43, v46, 0x3f5db3d7, v15
	v_fmac_f32_e32 v15, 0xbf5db3d7, v46
	v_fmamk_f32 v46, v48, 0xbf5db3d7, v151
	v_dual_fmac_f32 v151, 0x3f5db3d7, v48 :: v_dual_add_f32 v48, v88, v90
	v_dual_fmac_f32 v152, -0.5, v47 :: v_dual_sub_f32 v49, v100, v86
	v_add_f32_e32 v50, v8, v88
	v_add_f32_e32 v40, v149, v53
	s_delay_alu instid0(VALU_DEP_4) | instskip(SKIP_4) | instid1(VALU_DEP_4)
	v_fma_f32 v48, -0.5, v48, v8
	v_add_f32_e32 v8, v85, v87
	v_fmamk_f32 v47, v49, 0x3f5db3d7, v152
	v_dual_sub_f32 v53, v85, v87 :: v_dual_fmac_f32 v152, 0xbf5db3d7, v49
	v_add_f32_e32 v12, v12, v51
	v_fma_f32 v49, -0.5, v8, v9
	v_add_f32_e32 v8, v101, v94
	v_add_f32_e32 v45, v45, v57
	;; [unrolled: 1-line block ×5, first 2 shown]
	v_dual_add_f32 v41, v150, v54 :: v_dual_fmamk_f32 v52, v53, 0xbf5db3d7, v48
	v_fmac_f32_e32 v48, 0x3f5db3d7, v53
	v_dual_add_f32 v53, v11, v89 :: v_dual_sub_f32 v56, v88, v90
	v_fma_f32 v10, -0.5, v8, v10
	v_dual_sub_f32 v8, v89, v91 :: v_dual_fmac_f32 v143, 0x3f5db3d7, v108
	v_fmac_f32_e32 v144, 0xbf5db3d7, v110
	v_dual_add_f32 v54, v9, v94 :: v_dual_fmac_f32 v11, -0.5, v57
	v_sub_f32_e32 v9, v101, v94
	v_add_f32_e32 v41, v41, v55
	v_add_f32_e32 v55, v53, v91
	v_fmamk_f32 v53, v56, 0x3f5db3d7, v49
	v_dual_fmac_f32 v49, 0xbf5db3d7, v56 :: v_dual_fmamk_f32 v56, v8, 0xbf5db3d7, v10
	v_fmac_f32_e32 v10, 0x3f5db3d7, v8
	v_add3_u32 v8, 0, v29, v34
	v_fmamk_f32 v57, v9, 0x3f5db3d7, v11
	v_fmac_f32_e32 v11, 0xbf5db3d7, v9
	v_mul_u32_u24_e32 v9, 0x4b0, v28
	v_lshlrev_b32_e32 v28, 3, v37
	v_mul_u32_u24_e32 v29, 0x4b0, v35
	v_lshlrev_b32_e32 v34, 3, v39
	ds_store_b64 v58, v[143:144] offset:800
	ds_store_2addr_b64 v8, v[2:3], v[4:5] offset1:50
	v_mul_u32_u24_e32 v4, 0xda75, v23
	v_add3_u32 v2, 0, v9, v28
	ds_store_b64 v8, v[0:1] offset:800
	v_add3_u32 v0, 0, v29, v34
	v_add_f32_e32 v40, v40, v99
	v_lshrrev_b32_e32 v28, 22, v4
	v_mul_u32_u24_e32 v1, 0x4b0, v36
	v_lshlrev_b32_e32 v3, 3, v38
	ds_store_2addr_b64 v2, v[12:13], v[6:7] offset1:50
	ds_store_b64 v2, v[147:148] offset:800
	ds_store_2addr_b64 v0, v[40:41], v[42:43] offset1:50
	ds_store_b64 v0, v[14:15] offset:800
	v_mul_lo_u16 v0, 0x96, v28
	v_mul_u32_u24_e32 v6, 0xda75, v16
	v_add_f32_e32 v44, v44, v86
	v_add3_u32 v1, 0, v1, v3
	v_mul_u32_u24_e32 v2, 0x4b0, v30
	v_sub_nc_u16 v0, v84, v0
	v_lshrrev_b32_e32 v8, 22, v6
	v_lshlrev_b32_e32 v3, 3, v32
	v_mul_u32_u24_e32 v4, 0x4b0, v31
	v_lshlrev_b32_e32 v5, 3, v33
	ds_store_2addr_b64 v1, v[44:45], v[46:47] offset1:50
	ds_store_b64 v1, v[151:152] offset:800
	v_mul_lo_u16 v1, 0x96, v8
	v_and_b32_e32 v30, 0xffff, v0
	v_mul_u32_u24_e32 v0, 0xda75, v18
	v_dual_add_f32 v50, v50, v90 :: v_dual_add_f32 v51, v51, v87
	v_add3_u32 v2, 0, v2, v3
	v_add3_u32 v3, 0, v4, v5
	v_sub_nc_u16 v1, v80, v1
	v_lshrrev_b32_e32 v9, 22, v0
	v_mov_b32_e32 v12, 0
	v_mul_u32_u24_e32 v0, 0xda75, v17
	ds_store_2addr_b64 v2, v[50:51], v[52:53] offset1:50
	ds_store_b64 v2, v[48:49] offset:800
	ds_store_2addr_b64 v3, v[54:55], v[56:57] offset1:50
	ds_store_b64 v3, v[10:11] offset:800
	v_and_b32_e32 v15, 0xffff, v1
	v_mul_lo_u16 v1, 0x96, v9
	v_lshrrev_b32_e32 v10, 22, v0
	v_mul_u32_u24_e32 v0, 0xda75, v24
	v_mul_u32_u24_e32 v3, 0xda75, v26
	v_lshlrev_b32_e32 v2, 4, v30
	v_sub_nc_u16 v1, v82, v1
	v_mul_lo_u16 v11, 0x96, v10
	v_lshrrev_b32_e32 v17, 22, v0
	v_lshrrev_b32_e32 v16, 22, v3
	v_lshlrev_b32_e32 v4, 4, v15
	global_wb scope:SCOPE_SE
	s_wait_dscnt 0x0
	s_barrier_signal -1
	s_barrier_wait -1
	global_inv scope:SCOPE_SE
	s_clause 0x1
	global_load_b128 v[32:35], v2, s[8:9] offset:1120
	global_load_b128 v[4:7], v4, s[8:9] offset:1120
	v_and_b32_e32 v24, 0xffff, v1
	v_sub_nc_u16 v0, v81, v11
	v_mul_lo_u16 v1, 0x96, v17
	v_mul_lo_u16 v2, 0x96, v16
	v_mul_u32_u24_e32 v3, 0xda75, v27
	v_lshlrev_b32_e32 v11, 4, v24
	v_and_b32_e32 v26, 0xffff, v0
	v_sub_nc_u16 v0, v19, v1
	v_sub_nc_u16 v1, v20, v2
	v_lshrrev_b32_e32 v18, 22, v3
	v_mul_u32_u24_e32 v2, 0xda75, v25
	v_lshlrev_b32_e32 v3, 4, v26
	v_and_b32_e32 v29, 0xffff, v0
	v_and_b32_e32 v27, 0xffff, v1
	v_mul_lo_u16 v0, 0x96, v18
	v_lshrrev_b32_e32 v1, 22, v2
	s_clause 0x1
	global_load_b128 v[36:39], v11, s[8:9] offset:1120
	global_load_b128 v[40:43], v3, s[8:9] offset:1120
	v_lshlrev_b32_e32 v2, 4, v29
	v_lshlrev_b32_e32 v3, 4, v27
	v_sub_nc_u16 v0, v21, v0
	v_mul_lo_u16 v1, 0x96, v1
	v_lshlrev_b32_e32 v11, 1, v60
	s_clause 0x1
	global_load_b128 v[44:47], v2, s[8:9] offset:1120
	global_load_b128 v[48:51], v3, s[8:9] offset:1120
	v_dual_mov_b32 v3, v12 :: v_dual_lshlrev_b32 v26, 3, v26
	v_and_b32_e32 v25, 0xffff, v0
	v_sub_nc_u16 v0, v22, v1
	v_add_nc_u32_e32 v1, -15, v60
	v_mul_u32_u24_e32 v28, 0xe10, v28
	v_lshlrev_b32_e32 v30, 3, v30
	v_lshlrev_b32_e32 v2, 4, v25
	v_and_b32_e32 v31, 0xffff, v0
	s_wait_alu 0xf1ff
	v_cndmask_b32_e64 v23, v1, v83, s0
	v_lshlrev_b64_e32 v[0:1], 3, v[11:12]
	v_add3_u32 v28, 0, v28, v30
	global_load_b128 v[52:55], v2, s[8:9] offset:1120
	v_lshlrev_b32_e32 v56, 4, v31
	v_lshlrev_b32_e32 v2, 1, v23
	;; [unrolled: 1-line block ×3, first 2 shown]
	v_add_co_u32 v13, s0, s8, v0
	s_wait_alu 0xf1ff
	v_add_co_ci_u32_e64 v14, s0, s9, v1, s0
	v_lshlrev_b64_e32 v[0:1], 3, v[2:3]
	s_clause 0x1
	global_load_b128 v[56:59], v56, s[8:9] offset:1120
	global_load_b128 v[85:88], v[13:14], off offset:1120
	v_lshlrev_b32_e32 v24, 3, v24
	v_mul_u32_u24_e32 v10, 0xe10, v10
	v_add_co_u32 v0, s0, s8, v0
	s_wait_alu 0xf1ff
	v_add_co_ci_u32_e64 v1, s0, s9, v1, s0
	v_cmp_lt_u32_e64 s0, 14, v60
	global_load_b128 v[89:92], v[0:1], off offset:1120
	v_lshlrev_b32_e32 v1, 3, v23
	s_wait_alu 0xf1ff
	v_cndmask_b32_e64 v0, 0, 0xe10, s0
	v_add_nc_u32_e32 v23, 0x2c00, v66
	v_cmp_gt_u32_e64 s0, 45, v60
	s_delay_alu instid0(VALU_DEP_3)
	v_add3_u32 v149, 0, v0, v1
	ds_load_2addr_b64 v[93:96], v68 offset0:84 offset1:219
	ds_load_2addr_b64 v[97:100], v78 offset0:26 offset1:161
	;; [unrolled: 1-line block ×8, first 2 shown]
	ds_load_b64 v[145:146], v66 offset:10800
	ds_load_2addr_b64 v[125:128], v74 offset0:12 offset1:147
	ds_load_2addr_b32 v[147:148], v23 offset0:154 offset1:155
	ds_load_2addr_b64 v[129:132], v66 offset1:135
	ds_load_2addr_b64 v[133:136], v72 offset0:14 offset1:149
	ds_load_2addr_b64 v[137:140], v76 offset0:28 offset1:163
	;; [unrolled: 1-line block ×4, first 2 shown]
	global_wb scope:SCOPE_SE
	s_wait_loadcnt_dscnt 0x0
	s_barrier_signal -1
	s_barrier_wait -1
	global_inv scope:SCOPE_SE
	v_mul_f32_e32 v150, v94, v33
	v_mul_f32_e32 v33, v93, v33
	;; [unrolled: 1-line block ×3, first 2 shown]
	v_dual_mul_f32 v35, v97, v35 :: v_dual_mul_f32 v152, v96, v5
	v_mul_f32_e32 v5, v95, v5
	v_mul_f32_e32 v153, v100, v7
	v_dual_mul_f32 v7, v99, v7 :: v_dual_fmac_f32 v150, v93, v32
	v_fma_f32 v32, v94, v32, -v33
	v_fmac_f32_e32 v151, v97, v34
	v_fma_f32 v93, v98, v34, -v35
	v_fmac_f32_e32 v152, v95, v4
	v_dual_fmac_f32 v153, v99, v6 :: v_dual_mul_f32 v154, v102, v37
	v_mul_f32_e32 v37, v101, v37
	v_mul_f32_e32 v155, v106, v39
	v_dual_mul_f32 v39, v105, v39 :: v_dual_mul_f32 v156, v104, v41
	v_mul_f32_e32 v41, v103, v41
	v_mul_f32_e32 v158, v110, v45
	v_dual_mul_f32 v33, v109, v45 :: v_dual_mul_f32 v94, v114, v47
	v_dual_mul_f32 v34, v113, v47 :: v_dual_mul_f32 v47, v112, v49
	v_fma_f32 v45, v96, v4, -v5
	v_mul_f32_e32 v4, v111, v49
	v_fma_f32 v49, v100, v6, -v7
	v_mul_f32_e32 v95, v116, v51
	v_dual_mul_f32 v5, v115, v51 :: v_dual_fmac_f32 v154, v101, v36
	v_dual_fmac_f32 v155, v105, v38 :: v_dual_fmac_f32 v156, v103, v40
	s_delay_alu instid0(VALU_DEP_3)
	v_dual_fmac_f32 v95, v115, v50 :: v_dual_mul_f32 v96, v118, v53
	v_dual_mul_f32 v6, v117, v53 :: v_dual_mul_f32 v97, v122, v55
	v_mul_f32_e32 v7, v121, v55
	v_fma_f32 v50, v116, v50, -v5
	v_mul_f32_e32 v157, v108, v43
	v_dual_mul_f32 v43, v107, v43 :: v_dual_fmac_f32 v158, v109, v44
	v_fma_f32 v44, v110, v44, -v33
	v_mul_f32_e32 v55, v120, v57
	v_mul_f32_e32 v35, v119, v57
	;; [unrolled: 1-line block ×3, first 2 shown]
	v_fma_f32 v57, v102, v36, -v37
	v_mul_f32_e32 v37, v88, v126
	v_mul_f32_e32 v98, v124, v59
	;; [unrolled: 1-line block ×3, first 2 shown]
	v_fma_f32 v59, v106, v38, -v39
	v_mul_f32_e32 v36, v86, v145
	v_mul_f32_e32 v38, v88, v125
	v_fma_f32 v86, v104, v40, -v41
	v_fmac_f32_e32 v53, v85, v145
	v_mul_f32_e32 v39, v128, v92
	v_dual_mul_f32 v40, v127, v92 :: v_dual_mul_f32 v41, v148, v90
	v_dual_mul_f32 v88, v90, v147 :: v_dual_fmac_f32 v37, v87, v125
	v_fma_f32 v92, v112, v48, -v4
	v_fma_f32 v4, v85, v146, -v36
	;; [unrolled: 1-line block ×3, first 2 shown]
	v_fmac_f32_e32 v96, v117, v52
	v_fma_f32 v52, v118, v52, -v6
	v_fmac_f32_e32 v39, v127, v91
	v_fma_f32 v33, v128, v91, -v40
	;; [unrolled: 2-line block ×3, first 2 shown]
	v_add_f32_e32 v36, v53, v37
	v_fmac_f32_e32 v94, v113, v46
	v_fma_f32 v46, v114, v46, -v34
	v_fmac_f32_e32 v97, v121, v54
	v_fma_f32 v54, v122, v54, -v7
	v_dual_add_f32 v7, v130, v4 :: v_dual_add_f32 v34, v4, v5
	v_fma_f32 v90, v108, v42, -v43
	v_fmac_f32_e32 v98, v123, v58
	v_fma_f32 v58, v124, v58, -v51
	v_add_f32_e32 v43, v6, v33
	v_add_f32_e32 v51, v41, v39
	v_fmac_f32_e32 v157, v107, v42
	v_fmac_f32_e32 v47, v111, v48
	v_fma_f32 v99, v120, v56, -v35
	v_sub_f32_e32 v35, v4, v5
	v_add_f32_e32 v40, v132, v6
	v_sub_f32_e32 v42, v6, v33
	v_add_f32_e32 v48, v131, v41
	v_dual_add_f32 v87, v32, v93 :: v_dual_add_f32 v88, v150, v151
	v_fma_f32 v6, -0.5, v36, v129
	v_add_f32_e32 v4, v129, v53
	v_sub_f32_e32 v38, v53, v37
	v_add_f32_e32 v5, v7, v5
	v_fma_f32 v7, -0.5, v34, v130
	v_sub_f32_e32 v41, v41, v39
	v_fma_f32 v131, -0.5, v51, v131
	v_dual_fmac_f32 v132, -0.5, v43 :: v_dual_fmac_f32 v55, v119, v56
	v_dual_add_f32 v53, v133, v150 :: v_dual_add_f32 v56, v134, v32
	v_sub_f32_e32 v85, v32, v93
	v_add_f32_e32 v32, v48, v39
	v_fma_f32 v34, -0.5, v88, v133
	v_fmamk_f32 v36, v35, 0xbf5db3d7, v6
	v_fmac_f32_e32 v6, 0x3f5db3d7, v35
	v_fma_f32 v35, -0.5, v87, v134
	v_sub_f32_e32 v48, v150, v151
	v_dual_add_f32 v4, v4, v37 :: v_dual_fmamk_f32 v37, v38, 0x3f5db3d7, v7
	v_fmac_f32_e32 v7, 0xbf5db3d7, v38
	v_dual_add_f32 v33, v40, v33 :: v_dual_fmamk_f32 v38, v42, 0xbf5db3d7, v131
	v_fmamk_f32 v39, v41, 0x3f5db3d7, v132
	v_fmac_f32_e32 v131, 0x3f5db3d7, v42
	v_fmac_f32_e32 v132, 0xbf5db3d7, v41
	v_dual_add_f32 v40, v53, v151 :: v_dual_add_f32 v41, v56, v93
	v_fmamk_f32 v42, v85, 0xbf5db3d7, v34
	v_fmamk_f32 v43, v48, 0x3f5db3d7, v35
	ds_store_2addr_b64 v66, v[4:5], v[36:37] offset1:150
	ds_store_b64 v66, v[6:7] offset:2400
	ds_store_2addr_b64 v149, v[32:33], v[38:39] offset1:150
	ds_store_b64 v149, v[131:132] offset:2400
	ds_store_2addr_b64 v28, v[40:41], v[42:43] offset1:150
	v_fmac_f32_e32 v34, 0x3f5db3d7, v85
	v_dual_add_f32 v4, v152, v153 :: v_dual_fmac_f32 v35, 0xbf5db3d7, v48
	v_add_f32_e32 v7, v45, v49
	v_dual_add_f32 v5, v136, v45 :: v_dual_add_f32 v6, v135, v152
	s_delay_alu instid0(VALU_DEP_3) | instskip(SKIP_1) | instid1(VALU_DEP_4)
	v_fma_f32 v135, -0.5, v4, v135
	v_sub_f32_e32 v30, v45, v49
	v_fmac_f32_e32 v136, -0.5, v7
	v_sub_f32_e32 v32, v152, v153
	ds_store_b64 v28, v[34:35] offset:2400
	v_dual_add_f32 v28, v137, v154 :: v_dual_add_f32 v33, v154, v155
	v_dual_add_f32 v35, v57, v59 :: v_dual_add_f32 v4, v6, v153
	v_fmamk_f32 v6, v30, 0xbf5db3d7, v135
	v_dual_fmac_f32 v135, 0x3f5db3d7, v30 :: v_dual_add_f32 v30, v138, v57
	v_fmamk_f32 v7, v32, 0x3f5db3d7, v136
	v_dual_fmac_f32 v136, 0xbf5db3d7, v32 :: v_dual_sub_f32 v37, v57, v59
	v_fma_f32 v32, -0.5, v33, v137
	v_add_f32_e32 v34, v28, v155
	v_fma_f32 v33, -0.5, v35, v138
	v_sub_f32_e32 v28, v154, v155
	s_delay_alu instid0(VALU_DEP_4) | instskip(SKIP_2) | instid1(VALU_DEP_4)
	v_dual_add_f32 v35, v30, v59 :: v_dual_fmamk_f32 v36, v37, 0xbf5db3d7, v32
	v_fmac_f32_e32 v32, 0x3f5db3d7, v37
	v_add_f32_e32 v30, v156, v157
	v_fmamk_f32 v37, v28, 0x3f5db3d7, v33
	v_dual_fmac_f32 v33, 0xbf5db3d7, v28 :: v_dual_add_f32 v28, v86, v90
	v_add_f32_e32 v38, v139, v156
	s_delay_alu instid0(VALU_DEP_4) | instskip(SKIP_1) | instid1(VALU_DEP_4)
	v_fma_f32 v139, -0.5, v30, v139
	v_add_f32_e32 v30, v140, v86
	v_dual_sub_f32 v41, v86, v90 :: v_dual_fmac_f32 v140, -0.5, v28
	v_dual_sub_f32 v28, v156, v157 :: v_dual_add_f32 v43, v141, v158
	s_delay_alu instid0(VALU_DEP_2) | instskip(SKIP_1) | instid1(VALU_DEP_3)
	v_dual_add_f32 v39, v30, v90 :: v_dual_fmamk_f32 v40, v41, 0xbf5db3d7, v139
	v_fmac_f32_e32 v139, 0x3f5db3d7, v41
	v_fmamk_f32 v41, v28, 0x3f5db3d7, v140
	v_fmac_f32_e32 v140, 0xbf5db3d7, v28
	v_add_f32_e32 v28, v44, v46
	v_add_f32_e32 v30, v158, v94
	v_dual_add_f32 v45, v142, v44 :: v_dual_sub_f32 v48, v44, v46
	v_add_f32_e32 v44, v43, v94
	s_delay_alu instid0(VALU_DEP_4) | instskip(SKIP_3) | instid1(VALU_DEP_3)
	v_fma_f32 v43, -0.5, v28, v142
	v_dual_add_f32 v28, v47, v95 :: v_dual_add_f32 v5, v5, v49
	v_fma_f32 v42, -0.5, v30, v141
	v_dual_add_f32 v30, v143, v47 :: v_dual_add_f32 v49, v144, v92
	v_fma_f32 v143, -0.5, v28, v143
	v_sub_f32_e32 v28, v92, v50
	v_dual_add_f32 v53, v92, v50 :: v_dual_add_f32 v56, v1, v52
	s_delay_alu instid0(VALU_DEP_4) | instskip(SKIP_1) | instid1(VALU_DEP_4)
	v_add_f32_e32 v49, v49, v50
	v_sub_f32_e32 v57, v52, v54
	v_fmamk_f32 v50, v28, 0xbf5db3d7, v143
	v_dual_fmac_f32 v143, 0x3f5db3d7, v28 :: v_dual_add_f32 v28, v96, v97
	v_dual_fmac_f32 v144, -0.5, v53 :: v_dual_add_f32 v53, v0, v96
	v_dual_add_f32 v45, v45, v46 :: v_dual_fmamk_f32 v46, v48, 0xbf5db3d7, v42
	s_delay_alu instid0(VALU_DEP_3)
	v_fma_f32 v0, -0.5, v28, v0
	v_add_f32_e32 v28, v52, v54
	v_dual_fmac_f32 v42, 0x3f5db3d7, v48 :: v_dual_sub_f32 v51, v158, v94
	v_add_f32_e32 v48, v30, v95
	v_sub_f32_e32 v30, v47, v95
	v_dual_add_f32 v52, v53, v97 :: v_dual_add_f32 v53, v56, v54
	v_fmamk_f32 v54, v57, 0xbf5db3d7, v0
	v_fmac_f32_e32 v0, 0x3f5db3d7, v57
	v_fma_f32 v1, -0.5, v28, v1
	v_add_f32_e32 v28, v55, v98
	v_add_f32_e32 v57, v3, v99
	v_fmamk_f32 v47, v51, 0x3f5db3d7, v43
	v_fmac_f32_e32 v43, 0xbf5db3d7, v51
	v_fmamk_f32 v51, v30, 0x3f5db3d7, v144
	v_fmac_f32_e32 v144, 0xbf5db3d7, v30
	v_dual_add_f32 v30, v2, v55 :: v_dual_sub_f32 v59, v96, v97
	v_add_f32_e32 v85, v99, v58
	v_fma_f32 v2, -0.5, v28, v2
	v_add_f32_e32 v57, v57, v58
	v_sub_f32_e32 v28, v99, v58
	v_mul_u32_u24_e32 v58, 0xe10, v8
	v_add_f32_e32 v56, v30, v98
	v_sub_f32_e32 v30, v55, v98
	v_fmamk_f32 v55, v59, 0x3f5db3d7, v1
	v_fmac_f32_e32 v1, 0xbf5db3d7, v59
	v_mul_u32_u24_e32 v59, 0xe10, v9
	v_add3_u32 v15, 0, v58, v15
	v_add_f32_e32 v38, v38, v157
	v_dual_fmac_f32 v3, -0.5, v85 :: v_dual_fmamk_f32 v8, v28, 0xbf5db3d7, v2
	s_delay_alu instid0(VALU_DEP_4)
	v_add3_u32 v24, 0, v59, v24
	ds_store_2addr_b64 v15, v[4:5], v[6:7] offset1:150
	ds_store_b64 v15, v[135:136] offset:2400
	ds_store_2addr_b64 v24, v[34:35], v[36:37] offset1:150
	v_add3_u32 v4, 0, v10, v26
	v_mul_u32_u24_e32 v5, 0xe10, v17
	v_lshlrev_b32_e32 v6, 3, v29
	v_mul_u32_u24_e32 v7, 0xe10, v16
	v_lshlrev_b32_e32 v10, 3, v27
	ds_store_b64 v24, v[32:33] offset:2400
	ds_store_2addr_b64 v4, v[38:39], v[40:41] offset1:150
	ds_store_b64 v4, v[139:140] offset:2400
	v_add3_u32 v5, 0, v5, v6
	v_mul_u32_u24_e32 v6, 0xe10, v18
	v_add3_u32 v4, 0, v7, v10
	v_lshlrev_b32_e32 v7, 3, v25
	v_lshl_add_u32 v10, v31, 3, 0
	v_subrev_nc_u32_e32 v15, 45, v60
	v_dual_fmamk_f32 v9, v30, 0x3f5db3d7, v3 :: v_dual_fmac_f32 v2, 0x3f5db3d7, v28
	s_delay_alu instid0(VALU_DEP_4) | instskip(NEXT) | instid1(VALU_DEP_4)
	v_add3_u32 v6, 0, v6, v7
	v_add_nc_u32_e32 v7, 0x7000, v10
	v_fmac_f32_e32 v3, 0xbf5db3d7, v30
	ds_store_2addr_b64 v5, v[44:45], v[46:47] offset1:150
	ds_store_b64 v5, v[42:43] offset:2400
	ds_store_2addr_b64 v4, v[48:49], v[50:51] offset1:150
	ds_store_b64 v4, v[143:144] offset:2400
	v_dual_mov_b32 v5, v12 :: v_dual_lshlrev_b32 v4, 1, v83
	s_wait_alu 0xf1ff
	v_cndmask_b32_e64 v24, v15, v80, s0
	ds_store_2addr_b64 v6, v[52:53], v[54:55] offset1:150
	ds_store_b64 v6, v[0:1] offset:2400
	ds_store_2addr_b64 v7, v[56:57], v[8:9] offset0:16 offset1:166
	ds_store_b64 v10, v[2:3] offset:31200
	v_dual_mov_b32 v1, v12 :: v_dual_lshlrev_b32 v0, 1, v84
	v_lshlrev_b64_e32 v[2:3], 3, v[4:5]
	v_lshlrev_b32_e32 v4, 1, v24
	v_and_b32_e32 v10, 0xffff, v19
	v_and_b32_e32 v17, 0xffff, v20
	v_lshlrev_b64_e32 v[0:1], 3, v[0:1]
	global_wb scope:SCOPE_SE
	s_wait_dscnt 0x0
	v_lshlrev_b64_e32 v[4:5], 3, v[4:5]
	s_barrier_signal -1
	s_barrier_wait -1
	global_inv scope:SCOPE_SE
	v_add_co_u32 v15, s0, s8, v0
	s_wait_alu 0xf1ff
	v_add_co_ci_u32_e64 v16, s0, s9, v1, s0
	v_add_co_u32 v8, s0, s8, v4
	v_dual_mov_b32 v1, v12 :: v_dual_add_nc_u32 v0, 0xb4, v11
	v_add_nc_u32_e32 v11, 0x1c2, v11
	s_wait_alu 0xf1ff
	v_add_co_ci_u32_e64 v9, s0, s9, v5, s0
	global_load_b128 v[4:7], v[13:14], off offset:3520
	v_lshlrev_b64_e32 v[0:1], 3, v[0:1]
	v_mul_u32_u24_e32 v10, 0x91a3, v10
	s_clause 0x1
	global_load_b128 v[30:33], v[15:16], off offset:3520
	global_load_b128 v[34:37], v[8:9], off offset:3520
	v_lshlrev_b64_e32 v[8:9], 3, v[11:12]
	v_mul_u32_u24_e32 v11, 0x91a3, v17
	v_and_b32_e32 v18, 0xffff, v22
	v_lshrrev_b32_e32 v25, 24, v10
	v_add_co_u32 v0, s0, s8, v0
	s_delay_alu instid0(VALU_DEP_4) | instskip(SKIP_4) | instid1(VALU_DEP_3)
	v_lshrrev_b32_e32 v10, 24, v11
	v_and_b32_e32 v11, 0xffff, v21
	s_wait_alu 0xf1ff
	v_add_co_ci_u32_e64 v1, s0, s9, v1, s0
	v_add_co_u32 v8, s0, s8, v8
	v_mul_u32_u24_e32 v11, 0x91a3, v11
	s_wait_alu 0xf1ff
	v_add_co_ci_u32_e64 v9, s0, s9, v9, s0
	s_clause 0x1
	global_load_b128 v[38:41], v[0:1], off offset:3520
	global_load_b128 v[42:45], v[8:9], off offset:3520
	v_lshrrev_b32_e32 v0, 24, v11
	v_mul_u32_u24_e32 v1, 0x91a3, v18
	v_mul_lo_u16 v17, 0x1c2, v25
	v_mul_lo_u16 v10, 0x1c2, v10
	v_lshlrev_b32_e32 v24, 3, v24
	v_mul_lo_u16 v0, 0x1c2, v0
	v_lshrrev_b32_e32 v1, 24, v1
	v_sub_nc_u16 v17, v19, v17
	v_sub_nc_u16 v8, v20, v10
	s_delay_alu instid0(VALU_DEP_4) | instskip(NEXT) | instid1(VALU_DEP_4)
	v_sub_nc_u16 v0, v21, v0
	v_mul_lo_u16 v1, 0x1c2, v1
	s_delay_alu instid0(VALU_DEP_4) | instskip(SKIP_1) | instid1(VALU_DEP_4)
	v_and_b32_e32 v29, 0xffff, v17
	v_add_co_u32 v17, s0, s8, v2
	v_and_b32_e32 v27, 0xffff, v0
	s_delay_alu instid0(VALU_DEP_4)
	v_sub_nc_u16 v0, v22, v1
	s_wait_alu 0xf1ff
	v_add_co_ci_u32_e64 v18, s0, s9, v3, s0
	v_and_b32_e32 v28, 0xffff, v8
	v_lshlrev_b32_e32 v2, 4, v29
	v_and_b32_e32 v26, 0xffff, v0
	global_load_b128 v[46:49], v[17:18], off offset:3520
	v_lshlrev_b32_e32 v1, 4, v27
	v_lshlrev_b32_e32 v3, 4, v28
	global_load_b128 v[50:53], v2, s[8:9] offset:3520
	v_lshlrev_b32_e32 v0, 4, v26
	v_cmp_lt_u32_e64 s0, 44, v60
	s_clause 0x2
	global_load_b128 v[83:86], v1, s[8:9] offset:3520
	global_load_b128 v[54:57], v3, s[8:9] offset:3520
	;; [unrolled: 1-line block ×3, first 2 shown]
	ds_load_2addr_b64 v[91:94], v68 offset0:84 offset1:219
	ds_load_2addr_b64 v[95:98], v78 offset0:26 offset1:161
	ds_load_b64 v[58:59], v66 offset:10800
	ds_load_2addr_b64 v[99:102], v74 offset0:12 offset1:147
	ds_load_2addr_b64 v[103:106], v73 offset0:98 offset1:233
	ds_load_2addr_b32 v[135:136], v23 offset0:154 offset1:155
	ds_load_2addr_b64 v[107:110], v69 offset0:40 offset1:175
	ds_load_2addr_b64 v[111:114], v75 offset0:112 offset1:247
	;; [unrolled: 1-line block ×5, first 2 shown]
	ds_load_2addr_b64 v[127:130], v66 offset1:135
	ds_load_2addr_b64 v[8:11], v72 offset0:14 offset1:149
	ds_load_2addr_b64 v[131:134], v76 offset0:28 offset1:163
	;; [unrolled: 1-line block ×3, first 2 shown]
	s_wait_loadcnt_dscnt 0x90c
	v_mul_f32_e32 v141, v5, v59
	v_mul_f32_e32 v5, v5, v58
	s_wait_loadcnt 0x8
	v_mul_f32_e32 v137, v92, v31
	v_dual_mul_f32 v31, v91, v31 :: v_dual_mul_f32 v138, v96, v33
	v_mul_f32_e32 v33, v95, v33
	s_wait_loadcnt 0x7
	v_mul_f32_e32 v139, v94, v35
	v_dual_mul_f32 v35, v93, v35 :: v_dual_mul_f32 v140, v98, v37
	v_mul_f32_e32 v37, v97, v37
	s_wait_dscnt 0xb
	v_mul_f32_e32 v145, v7, v100
	v_mul_f32_e32 v7, v7, v99
	v_fmac_f32_e32 v137, v91, v30
	v_fma_f32 v91, v92, v30, -v31
	v_fmac_f32_e32 v138, v95, v32
	v_fma_f32 v92, v96, v32, -v33
	;; [unrolled: 2-line block ×4, first 2 shown]
	s_wait_loadcnt_dscnt 0x60a
	v_mul_f32_e32 v142, v104, v39
	v_mul_f32_e32 v39, v103, v39
	s_wait_dscnt 0x8
	v_mul_f32_e32 v143, v108, v41
	v_mul_f32_e32 v41, v107, v41
	v_fmac_f32_e32 v141, v4, v58
	v_fmac_f32_e32 v142, v103, v38
	v_fma_f32 v36, v4, v59, -v5
	v_fmac_f32_e32 v145, v6, v99
	v_fma_f32 v37, v6, v100, -v7
	v_fmac_f32_e32 v143, v107, v40
	v_fma_f32 v41, v108, v40, -v41
	s_wait_loadcnt 0x5
	v_dual_mul_f32 v144, v106, v43 :: v_dual_add_f32 v5, v141, v145
	v_add_f32_e32 v7, v36, v37
	v_dual_mul_f32 v43, v105, v43 :: v_dual_mul_f32 v146, v110, v45
	v_mul_f32_e32 v45, v109, v45
	v_sub_f32_e32 v6, v36, v37
	v_fmac_f32_e32 v144, v105, v42
	s_delay_alu instid0(VALU_DEP_4)
	v_fma_f32 v43, v106, v42, -v43
	v_fmac_f32_e32 v146, v109, v44
	v_fma_f32 v95, v110, v44, -v45
	v_add_nc_u32_e32 v42, 0x1c00, v66
	s_wait_loadcnt_dscnt 0x403
	v_dual_add_f32 v44, v127, v141 :: v_dual_mul_f32 v147, v136, v47
	v_dual_mul_f32 v47, v47, v135 :: v_dual_mul_f32 v148, v102, v49
	v_mul_f32_e32 v49, v101, v49
	s_wait_loadcnt 0x3
	v_mul_f32_e32 v150, v116, v53
	v_mul_f32_e32 v53, v115, v53
	s_wait_loadcnt 0x1
	v_dual_mul_f32 v32, v119, v84 :: v_dual_mul_f32 v151, v114, v55
	v_dual_mul_f32 v30, v113, v55 :: v_dual_mul_f32 v55, v118, v57
	v_mul_f32_e32 v31, v117, v57
	v_mul_f32_e32 v57, v120, v84
	;; [unrolled: 1-line block ×3, first 2 shown]
	s_wait_loadcnt 0x0
	v_dual_mul_f32 v33, v123, v86 :: v_dual_mul_f32 v86, v122, v88
	v_mul_f32_e32 v34, v121, v88
	v_mul_f32_e32 v88, v126, v90
	;; [unrolled: 1-line block ×3, first 2 shown]
	v_fma_f32 v90, v104, v38, -v39
	v_fmac_f32_e32 v148, v101, v48
	v_fma_f32 v38, v102, v48, -v49
	v_fmac_f32_e32 v147, v46, v135
	v_fma_f32 v4, v136, v46, -v47
	v_mul_f32_e32 v149, v112, v51
	v_mul_f32_e32 v51, v111, v51
	v_fma_f32 v49, v116, v52, -v53
	v_fma_f32 v53, v120, v83, -v32
	;; [unrolled: 1-line block ×3, first 2 shown]
	v_dual_add_f32 v32, v147, v148 :: v_dual_sub_f32 v35, v4, v38
	v_add_f32_e32 v40, v130, v4
	v_add_f32_e32 v4, v4, v38
	v_fmac_f32_e32 v149, v111, v50
	v_fma_f32 v48, v112, v50, -v51
	v_fma_f32 v50, v114, v54, -v30
	;; [unrolled: 1-line block ×4, first 2 shown]
	v_sub_f32_e32 v34, v141, v145
	v_add_f32_e32 v39, v129, v147
	v_fma_f32 v30, -0.5, v5, v127
	v_sub_f32_e32 v5, v147, v148
	v_fma_f32 v31, -0.5, v7, v128
	v_fma_f32 v129, -0.5, v32, v129
	v_dual_fmac_f32 v130, -0.5, v4 :: v_dual_fmac_f32 v151, v113, v54
	v_fma_f32 v54, v124, v85, -v33
	v_fmamk_f32 v32, v6, 0xbf5db3d7, v30
	v_dual_fmac_f32 v30, 0x3f5db3d7, v6 :: v_dual_fmamk_f32 v33, v34, 0x3f5db3d7, v31
	v_fmac_f32_e32 v31, 0xbf5db3d7, v34
	v_fmamk_f32 v34, v35, 0xbf5db3d7, v129
	v_fmac_f32_e32 v129, 0x3f5db3d7, v35
	v_fmamk_f32 v35, v5, 0x3f5db3d7, v130
	v_fmac_f32_e32 v130, 0xbf5db3d7, v5
	v_add_f32_e32 v36, v128, v36
	ds_load_2addr_b64 v[4:7], v70 offset0:56 offset1:191
	global_wb scope:SCOPE_SE
	s_wait_dscnt 0x0
	s_barrier_signal -1
	s_barrier_wait -1
	global_inv scope:SCOPE_SE
	ds_store_2addr_b64 v42, v[30:31], v[129:130] offset0:4 offset1:139
	v_add_f32_e32 v30, v44, v145
	v_add_f32_e32 v42, v8, v137
	v_dual_add_f32 v44, v9, v91 :: v_dual_add_f32 v31, v36, v37
	v_dual_add_f32 v36, v39, v148 :: v_dual_add_f32 v37, v40, v38
	s_delay_alu instid0(VALU_DEP_2)
	v_dual_add_f32 v38, v42, v138 :: v_dual_add_f32 v39, v44, v92
	ds_store_2addr_b64 v66, v[30:31], v[36:37] offset1:135
	ds_store_2addr_b64 v72, v[38:39], v[32:33] offset0:14 offset1:194
	v_dual_add_f32 v37, v93, v94 :: v_dual_add_f32 v38, v11, v93
	v_add_f32_e32 v42, v91, v92
	v_add_f32_e32 v31, v139, v140
	;; [unrolled: 1-line block ×3, first 2 shown]
	s_delay_alu instid0(VALU_DEP_4)
	v_fmac_f32_e32 v11, -0.5, v37
	v_add_f32_e32 v37, v38, v94
	v_add_f32_e32 v38, v142, v143
	v_fma_f32 v9, -0.5, v42, v9
	v_dual_sub_f32 v32, v137, v138 :: v_dual_add_f32 v33, v10, v139
	v_fma_f32 v10, -0.5, v31, v10
	v_dual_sub_f32 v36, v93, v94 :: v_dual_sub_f32 v39, v139, v140
	v_add_f32_e32 v42, v132, v90
	v_sub_f32_e32 v44, v90, v41
	v_fma_f32 v38, -0.5, v38, v131
	v_fma_f32 v8, -0.5, v45, v8
	v_dual_sub_f32 v40, v91, v92 :: v_dual_fmamk_f32 v31, v32, 0x3f5db3d7, v9
	v_dual_fmac_f32 v9, 0xbf5db3d7, v32 :: v_dual_fmamk_f32 v32, v36, 0xbf5db3d7, v10
	v_fmac_f32_e32 v10, 0x3f5db3d7, v36
	v_dual_add_f32 v36, v33, v140 :: v_dual_fmamk_f32 v33, v39, 0x3f5db3d7, v11
	v_fmac_f32_e32 v11, 0xbf5db3d7, v39
	v_add_f32_e32 v39, v90, v41
	v_dual_add_f32 v41, v42, v41 :: v_dual_fmamk_f32 v42, v44, 0xbf5db3d7, v38
	v_fmac_f32_e32 v38, 0x3f5db3d7, v44
	v_add_f32_e32 v44, v144, v146
	v_fmac_f32_e32 v150, v115, v52
	v_dual_fmac_f32 v55, v117, v56 :: v_dual_fmamk_f32 v30, v40, 0xbf5db3d7, v8
	v_dual_add_f32 v45, v133, v144 :: v_dual_add_f32 v46, v134, v43
	v_add_f32_e32 v52, v43, v95
	v_fma_f32 v133, -0.5, v44, v133
	v_sub_f32_e32 v56, v43, v95
	v_fma_f32 v39, -0.5, v39, v132
	v_dual_sub_f32 v47, v142, v143 :: v_dual_add_f32 v44, v45, v146
	v_dual_add_f32 v45, v46, v95 :: v_dual_fmac_f32 v134, -0.5, v52
	v_sub_f32_e32 v52, v144, v146
	v_fmamk_f32 v46, v56, 0xbf5db3d7, v133
	v_dual_fmac_f32 v133, 0x3f5db3d7, v56 :: v_dual_add_f32 v56, v149, v150
	ds_store_2addr_b64 v76, v[34:35], v[30:31] offset0:73 offset1:208
	v_dual_add_f32 v30, v1, v48 :: v_dual_fmac_f32 v57, v119, v83
	v_fmac_f32_e32 v84, v123, v85
	v_fmamk_f32 v43, v47, 0x3f5db3d7, v39
	v_fmac_f32_e32 v39, 0xbf5db3d7, v47
	v_fmamk_f32 v47, v52, 0x3f5db3d7, v134
	v_fmac_f32_e32 v134, 0xbf5db3d7, v52
	v_add_f32_e32 v34, v0, v149
	v_fma_f32 v0, -0.5, v56, v0
	v_sub_f32_e32 v35, v48, v49
	v_add_f32_e32 v48, v48, v49
	v_add_f32_e32 v31, v30, v49
	;; [unrolled: 1-line block ×4, first 2 shown]
	v_dual_add_f32 v56, v50, v51 :: v_dual_add_f32 v83, v3, v50
	v_fmac_f32_e32 v86, v121, v87
	s_delay_alu instid0(VALU_DEP_4) | instskip(SKIP_1) | instid1(VALU_DEP_4)
	v_fma_f32 v2, -0.5, v49, v2
	v_sub_f32_e32 v49, v50, v51
	v_dual_fmac_f32 v3, -0.5, v56 :: v_dual_sub_f32 v56, v151, v55
	v_add_f32_e32 v50, v52, v55
	v_dual_add_f32 v52, v57, v84 :: v_dual_add_f32 v55, v4, v57
	v_fmac_f32_e32 v88, v125, v89
	v_fma_f32 v1, -0.5, v48, v1
	v_sub_f32_e32 v48, v149, v150
	s_delay_alu instid0(VALU_DEP_4)
	v_fma_f32 v4, -0.5, v52, v4
	v_dual_add_f32 v52, v55, v84 :: v_dual_add_f32 v55, v53, v54
	v_fmac_f32_e32 v8, 0x3f5db3d7, v40
	v_add_f32_e32 v30, v34, v150
	v_fmamk_f32 v34, v35, 0xbf5db3d7, v0
	v_dual_fmac_f32 v0, 0x3f5db3d7, v35 :: v_dual_fmamk_f32 v35, v48, 0x3f5db3d7, v1
	v_dual_fmac_f32 v1, 0xbf5db3d7, v48 :: v_dual_fmamk_f32 v48, v49, 0xbf5db3d7, v2
	v_dual_fmac_f32 v2, 0x3f5db3d7, v49 :: v_dual_add_f32 v51, v83, v51
	v_add_f32_e32 v83, v5, v53
	v_fmamk_f32 v49, v56, 0x3f5db3d7, v3
	v_fmac_f32_e32 v3, 0xbf5db3d7, v56
	v_add_f32_e32 v56, v86, v88
	v_fma_f32 v5, -0.5, v55, v5
	v_dual_add_f32 v55, v6, v86 :: v_dual_sub_f32 v84, v57, v84
	v_sub_f32_e32 v85, v53, v54
	v_add_f32_e32 v40, v131, v142
	v_fma_f32 v6, -0.5, v56, v6
	s_delay_alu instid0(VALU_DEP_4)
	v_dual_add_f32 v56, v55, v88 :: v_dual_fmamk_f32 v55, v84, 0x3f5db3d7, v5
	v_fmac_f32_e32 v5, 0xbf5db3d7, v84
	s_wait_alu 0xf1ff
	v_cndmask_b32_e64 v84, 0, 0x2a30, s0
	ds_store_b64 v66, v[8:9] offset:9360
	v_mul_u32_u24_e32 v8, 0x2a30, v25
	v_lshlrev_b32_e32 v9, 3, v29
	v_dual_add_f32 v53, v83, v54 :: v_dual_fmamk_f32 v54, v85, 0xbf5db3d7, v4
	v_dual_fmac_f32 v4, 0x3f5db3d7, v85 :: v_dual_add_f32 v83, v7, v58
	v_add_f32_e32 v85, v58, v59
	v_add_f32_e32 v40, v40, v143
	v_add3_u32 v24, 0, v84, v24
	v_add3_u32 v8, 0, v8, v9
	v_add_nc_u32_e32 v25, 0x4800, v66
	v_add_f32_e32 v57, v83, v59
	v_sub_f32_e32 v59, v58, v59
	v_fmac_f32_e32 v7, -0.5, v85
	v_sub_f32_e32 v83, v86, v88
	ds_store_b64 v24, v[36:37]
	ds_store_b64 v24, v[32:33] offset:3600
	ds_store_b64 v24, v[10:11] offset:7200
	ds_store_2addr_b64 v23, v[40:41], v[44:45] offset0:32 offset1:167
	ds_store_2addr_b64 v73, v[42:43], v[46:47] offset0:98 offset1:233
	;; [unrolled: 1-line block ×3, first 2 shown]
	v_lshl_add_u32 v9, v28, 3, 0
	ds_store_b64 v8, v[30:31]
	ds_store_b64 v8, v[34:35] offset:3600
	ds_store_b64 v8, v[0:1] offset:7200
	v_lshl_add_u32 v0, v27, 3, 0
	v_lshlrev_b32_e32 v11, 1, v80
	v_lshl_add_u32 v1, v26, 3, 0
	v_fmamk_f32 v58, v59, 0xbf5db3d7, v6
	v_dual_fmac_f32 v6, 0x3f5db3d7, v59 :: v_dual_fmamk_f32 v59, v83, 0x3f5db3d7, v7
	v_fmac_f32_e32 v7, 0xbf5db3d7, v83
	ds_store_b64 v9, v[50:51] offset:21600
	ds_store_b64 v9, v[48:49] offset:25200
	;; [unrolled: 1-line block ×9, first 2 shown]
	v_lshlrev_b64_e32 v[0:1], 3, v[11:12]
	v_lshlrev_b32_e32 v11, 1, v82
	global_wb scope:SCOPE_SE
	s_wait_dscnt 0x0
	s_barrier_signal -1
	s_barrier_wait -1
	global_inv scope:SCOPE_SE
	v_lshlrev_b64_e32 v[2:3], 3, v[11:12]
	v_lshlrev_b32_e32 v11, 1, v81
	v_add_co_u32 v4, s0, s8, v0
	s_wait_alu 0xf1ff
	v_add_co_ci_u32_e64 v5, s0, s9, v1, s0
	s_delay_alu instid0(VALU_DEP_3) | instskip(SKIP_4) | instid1(VALU_DEP_4)
	v_lshlrev_b64_e32 v[0:1], 3, v[11:12]
	v_lshlrev_b32_e32 v11, 1, v19
	v_add_co_u32 v8, s0, s8, v2
	s_wait_alu 0xf1ff
	v_add_co_ci_u32_e64 v9, s0, s9, v3, s0
	v_add_co_u32 v28, s0, s8, v0
	v_lshlrev_b64_e32 v[32:33], 3, v[11:12]
	v_lshlrev_b32_e32 v11, 1, v20
	s_wait_alu 0xf1ff
	v_add_co_ci_u32_e64 v29, s0, s9, v1, s0
	s_clause 0x3
	global_load_b128 v[0:3], v[15:16], off offset:10720
	global_load_b128 v[4:7], v[4:5], off offset:10720
	;; [unrolled: 1-line block ×4, first 2 shown]
	v_lshlrev_b64_e32 v[8:9], 3, v[11:12]
	v_add_co_u32 v15, s0, s8, v32
	v_lshlrev_b32_e32 v11, 1, v21
	s_wait_alu 0xf1ff
	v_add_co_ci_u32_e64 v16, s0, s9, v33, s0
	s_delay_alu instid0(VALU_DEP_4)
	v_add_co_u32 v8, s0, s8, v8
	s_wait_alu 0xf1ff
	v_add_co_ci_u32_e64 v9, s0, s9, v9, s0
	v_lshlrev_b64_e32 v[40:41], 3, v[11:12]
	v_lshlrev_b32_e32 v11, 1, v22
	s_clause 0x3
	global_load_b128 v[32:35], v[15:16], off offset:10720
	global_load_b128 v[19:22], v[8:9], off offset:10720
	;; [unrolled: 1-line block ×4, first 2 shown]
	v_lshlrev_b64_e32 v[8:9], 3, v[11:12]
	v_add_co_u32 v10, s0, s8, v40
	s_wait_alu 0xf1ff
	v_add_co_ci_u32_e64 v11, s0, s9, v41, s0
	s_delay_alu instid0(VALU_DEP_3)
	v_add_co_u32 v17, s0, s8, v8
	s_wait_alu 0xf1ff
	v_add_co_ci_u32_e64 v18, s0, s9, v9, s0
	s_clause 0x1
	global_load_b128 v[8:11], v[10:11], off offset:10720
	global_load_b128 v[40:43], v[17:18], off offset:10720
	ds_load_2addr_b64 v[44:47], v68 offset0:84 offset1:219
	ds_load_2addr_b64 v[48:51], v78 offset0:26 offset1:161
	ds_load_2addr_b64 v[52:55], v66 offset1:135
	ds_load_b64 v[17:18], v66 offset:10800
	ds_load_2addr_b64 v[56:59], v73 offset0:98 offset1:233
	ds_load_2addr_b64 v[80:83], v74 offset0:12 offset1:147
	;; [unrolled: 1-line block ×5, first 2 shown]
	ds_load_2addr_b32 v[120:121], v23 offset0:154 offset1:155
	ds_load_2addr_b64 v[96:99], v72 offset0:14 offset1:149
	ds_load_2addr_b64 v[100:103], v67 offset0:62 offset1:197
	;; [unrolled: 1-line block ×6, first 2 shown]
	global_wb scope:SCOPE_SE
	s_wait_loadcnt_dscnt 0x0
	s_barrier_signal -1
	s_barrier_wait -1
	global_inv scope:SCOPE_SE
	v_mul_f32_e32 v123, v47, v5
	v_mul_f32_e32 v23, v45, v1
	v_dual_mul_f32 v1, v44, v1 :: v_dual_mul_f32 v122, v49, v3
	v_mul_f32_e32 v3, v48, v3
	v_dual_mul_f32 v5, v46, v5 :: v_dual_mul_f32 v124, v51, v7
	v_mul_f32_e32 v7, v50, v7
	v_fmac_f32_e32 v23, v44, v0
	v_fma_f32 v0, v45, v0, -v1
	v_fmac_f32_e32 v122, v48, v2
	v_fma_f32 v44, v49, v2, -v3
	v_fma_f32 v45, v47, v4, -v5
	v_fmac_f32_e32 v123, v46, v4
	v_mul_f32_e32 v131, v91, v20
	v_mul_f32_e32 v133, v14, v18
	;; [unrolled: 1-line block ×4, first 2 shown]
	v_dual_mul_f32 v16, v16, v80 :: v_dual_mul_f32 v135, v83, v39
	v_dual_mul_f32 v39, v82, v39 :: v_dual_mul_f32 v136, v121, v37
	v_mul_f32_e32 v37, v37, v120
	v_dual_mul_f32 v20, v90, v20 :: v_dual_fmac_f32 v133, v13, v17
	v_fma_f32 v1, v13, v18, -v14
	v_fmac_f32_e32 v134, v15, v80
	v_fma_f32 v3, v15, v81, -v16
	v_fmac_f32_e32 v135, v82, v38
	v_fma_f32 v5, v83, v38, -v39
	v_mul_f32_e32 v137, v101, v9
	v_dual_mul_f32 v9, v100, v9 :: v_dual_mul_f32 v138, v105, v11
	v_mul_f32_e32 v11, v104, v11
	v_fmac_f32_e32 v136, v36, v120
	v_fma_f32 v2, v121, v36, -v37
	v_mul_f32_e32 v132, v95, v22
	v_mul_f32_e32 v22, v94, v22
	v_fmac_f32_e32 v124, v50, v6
	v_fma_f32 v46, v51, v6, -v7
	v_fmac_f32_e32 v131, v90, v19
	v_fma_f32 v47, v91, v19, -v20
	v_fmac_f32_e32 v137, v100, v8
	v_fma_f32 v49, v101, v8, -v9
	v_fma_f32 v50, v105, v10, -v11
	v_add_f32_e32 v6, v133, v134
	v_add_f32_e32 v8, v53, v1
	;; [unrolled: 1-line block ×3, first 2 shown]
	v_dual_add_f32 v11, v136, v135 :: v_dual_add_f32 v16, v2, v5
	v_dual_add_f32 v18, v96, v23 :: v_dual_add_f32 v19, v23, v122
	v_mul_f32_e32 v125, v57, v25
	v_mul_f32_e32 v126, v85, v27
	v_fmac_f32_e32 v132, v94, v21
	v_fma_f32 v48, v95, v21, -v22
	v_fmac_f32_e32 v138, v104, v10
	v_dual_add_f32 v4, v52, v133 :: v_dual_sub_f32 v7, v1, v3
	v_dual_sub_f32 v13, v133, v134 :: v_dual_add_f32 v10, v54, v136
	v_dual_sub_f32 v14, v2, v5 :: v_dual_add_f32 v15, v55, v2
	v_sub_f32_e32 v17, v136, v135
	v_sub_f32_e32 v20, v0, v44
	v_add_f32_e32 v21, v0, v44
	v_fma_f32 v2, -0.5, v6, v52
	v_add_f32_e32 v1, v8, v3
	v_fma_f32 v3, -0.5, v9, v53
	v_fma_f32 v54, -0.5, v11, v54
	v_fmac_f32_e32 v55, -0.5, v16
	v_fma_f32 v6, -0.5, v19, v96
	v_add_f32_e32 v8, v18, v122
	v_dual_add_f32 v18, v123, v124 :: v_dual_mul_f32 v25, v56, v25
	v_mul_f32_e32 v27, v84, v27
	v_fmac_f32_e32 v125, v56, v24
	v_fmac_f32_e32 v126, v84, v26
	v_add_f32_e32 v22, v97, v0
	v_add_f32_e32 v0, v4, v134
	v_dual_add_f32 v4, v10, v135 :: v_dual_add_f32 v5, v15, v5
	v_fmamk_f32 v10, v7, 0xbf5db3d7, v2
	v_dual_fmac_f32 v2, 0x3f5db3d7, v7 :: v_dual_fmamk_f32 v11, v13, 0x3f5db3d7, v3
	v_fmac_f32_e32 v3, 0xbf5db3d7, v13
	v_fmamk_f32 v13, v14, 0xbf5db3d7, v54
	v_fmac_f32_e32 v54, 0x3f5db3d7, v14
	v_fmamk_f32 v14, v17, 0x3f5db3d7, v55
	v_fmac_f32_e32 v55, 0xbf5db3d7, v17
	v_fma_f32 v7, -0.5, v21, v97
	v_sub_f32_e32 v17, v23, v122
	v_fmamk_f32 v15, v20, 0xbf5db3d7, v6
	v_dual_fmac_f32 v6, 0x3f5db3d7, v20 :: v_dual_add_f32 v19, v98, v123
	v_add_f32_e32 v20, v45, v46
	v_fma_f32 v98, -0.5, v18, v98
	v_dual_sub_f32 v18, v45, v46 :: v_dual_add_f32 v21, v99, v45
	v_mul_f32_e32 v127, v59, v29
	v_mul_f32_e32 v128, v87, v31
	v_fma_f32 v24, v57, v24, -v25
	v_fma_f32 v26, v85, v26, -v27
	v_dual_add_f32 v9, v22, v44 :: v_dual_fmamk_f32 v16, v17, 0x3f5db3d7, v7
	v_fmac_f32_e32 v7, 0xbf5db3d7, v17
	v_add_f32_e32 v17, v19, v124
	v_fmac_f32_e32 v99, -0.5, v20
	v_dual_sub_f32 v22, v123, v124 :: v_dual_fmamk_f32 v19, v18, 0xbf5db3d7, v98
	v_fmac_f32_e32 v98, 0x3f5db3d7, v18
	v_add_f32_e32 v18, v21, v46
	v_add_f32_e32 v21, v125, v126
	v_mul_f32_e32 v29, v58, v29
	v_mul_f32_e32 v31, v86, v31
	v_fmac_f32_e32 v127, v58, v28
	v_fmac_f32_e32 v128, v86, v30
	v_fmamk_f32 v20, v22, 0x3f5db3d7, v99
	v_fmac_f32_e32 v99, 0xbf5db3d7, v22
	v_add_f32_e32 v22, v24, v26
	v_fma_f32 v21, -0.5, v21, v108
	v_sub_f32_e32 v27, v24, v26
	v_mul_f32_e32 v129, v89, v33
	v_dual_mul_f32 v33, v88, v33 :: v_dual_mul_f32 v130, v93, v35
	v_mul_f32_e32 v35, v92, v35
	v_fma_f32 v28, v59, v28, -v29
	v_fma_f32 v30, v87, v30, -v31
	v_add_f32_e32 v24, v109, v24
	v_fma_f32 v22, -0.5, v22, v109
	v_sub_f32_e32 v29, v125, v126
	v_fmamk_f32 v25, v27, 0xbf5db3d7, v21
	v_fmac_f32_e32 v21, 0x3f5db3d7, v27
	v_add_f32_e32 v27, v127, v128
	v_fmac_f32_e32 v129, v88, v32
	v_fma_f32 v32, v89, v32, -v33
	v_fmac_f32_e32 v130, v92, v34
	v_fma_f32 v34, v93, v34, -v35
	v_add_f32_e32 v24, v24, v26
	v_dual_fmamk_f32 v26, v29, 0x3f5db3d7, v22 :: v_dual_add_f32 v31, v110, v127
	v_dual_fmac_f32 v22, 0xbf5db3d7, v29 :: v_dual_add_f32 v29, v28, v30
	v_fma_f32 v110, -0.5, v27, v110
	v_sub_f32_e32 v33, v28, v30
	s_delay_alu instid0(VALU_DEP_4) | instskip(NEXT) | instid1(VALU_DEP_4)
	v_add_f32_e32 v27, v31, v128
	v_dual_add_f32 v28, v111, v28 :: v_dual_fmac_f32 v111, -0.5, v29
	v_sub_f32_e32 v31, v127, v128
	s_delay_alu instid0(VALU_DEP_4)
	v_fmamk_f32 v29, v33, 0xbf5db3d7, v110
	v_dual_fmac_f32 v110, 0x3f5db3d7, v33 :: v_dual_add_f32 v33, v129, v130
	v_add_f32_e32 v36, v32, v34
	v_add_f32_e32 v28, v28, v30
	v_dual_fmamk_f32 v30, v31, 0x3f5db3d7, v111 :: v_dual_add_f32 v35, v112, v129
	v_fmac_f32_e32 v111, 0xbf5db3d7, v31
	v_fma_f32 v31, -0.5, v33, v112
	v_dual_sub_f32 v37, v32, v34 :: v_dual_add_f32 v38, v113, v32
	v_fma_f32 v32, -0.5, v36, v113
	v_sub_f32_e32 v39, v129, v130
	v_mul_f32_e32 v139, v103, v41
	v_dual_mul_f32 v41, v102, v41 :: v_dual_mul_f32 v140, v107, v43
	v_mul_f32_e32 v43, v106, v43
	v_add_f32_e32 v33, v35, v130
	v_fmamk_f32 v35, v37, 0xbf5db3d7, v31
	v_dual_fmac_f32 v31, 0x3f5db3d7, v37 :: v_dual_add_f32 v34, v38, v34
	v_add_f32_e32 v37, v131, v132
	v_fmamk_f32 v36, v39, 0x3f5db3d7, v32
	v_add_f32_e32 v38, v114, v131
	v_dual_fmac_f32 v32, 0xbf5db3d7, v39 :: v_dual_add_f32 v39, v47, v48
	v_fmac_f32_e32 v139, v102, v40
	v_fma_f32 v51, v103, v40, -v41
	v_fmac_f32_e32 v140, v106, v42
	v_fma_f32 v56, v107, v42, -v43
	v_fma_f32 v114, -0.5, v37, v114
	v_sub_f32_e32 v40, v47, v48
	v_dual_add_f32 v37, v38, v132 :: v_dual_add_f32 v38, v115, v47
	v_dual_fmac_f32 v115, -0.5, v39 :: v_dual_sub_f32 v42, v131, v132
	s_delay_alu instid0(VALU_DEP_3) | instskip(SKIP_1) | instid1(VALU_DEP_3)
	v_fmamk_f32 v39, v40, 0xbf5db3d7, v114
	v_dual_fmac_f32 v114, 0x3f5db3d7, v40 :: v_dual_add_f32 v41, v137, v138
	v_dual_add_f32 v47, v139, v140 :: v_dual_fmamk_f32 v40, v42, 0x3f5db3d7, v115
	v_fmac_f32_e32 v115, 0xbf5db3d7, v42
	v_add_f32_e32 v42, v49, v50
	v_add_f32_e32 v38, v38, v48
	;; [unrolled: 1-line block ×3, first 2 shown]
	v_fma_f32 v41, -0.5, v41, v116
	v_sub_f32_e32 v46, v49, v50
	v_fma_f32 v42, -0.5, v42, v117
	v_dual_sub_f32 v48, v137, v138 :: v_dual_add_f32 v49, v118, v139
	v_fma_f32 v118, -0.5, v47, v118
	v_add_f32_e32 v47, v51, v56
	v_add_f32_e32 v23, v108, v125
	;; [unrolled: 1-line block ×3, first 2 shown]
	v_dual_add_f32 v44, v44, v50 :: v_dual_fmamk_f32 v45, v46, 0xbf5db3d7, v41
	v_dual_fmac_f32 v41, 0x3f5db3d7, v46 :: v_dual_sub_f32 v50, v51, v56
	v_fmamk_f32 v46, v48, 0x3f5db3d7, v42
	v_fmac_f32_e32 v42, 0xbf5db3d7, v48
	v_add_f32_e32 v48, v119, v51
	v_fmac_f32_e32 v119, -0.5, v47
	v_sub_f32_e32 v51, v139, v140
	v_add_f32_e32 v23, v23, v126
	v_add_f32_e32 v43, v43, v138
	v_fmamk_f32 v47, v50, 0xbf5db3d7, v118
	v_dual_fmac_f32 v118, 0x3f5db3d7, v50 :: v_dual_add_f32 v49, v49, v140
	v_add_f32_e32 v50, v48, v56
	v_fmamk_f32 v48, v51, 0x3f5db3d7, v119
	v_fmac_f32_e32 v119, 0xbf5db3d7, v51
	ds_store_2addr_b64 v66, v[0:1], v[4:5] offset1:135
	ds_store_2addr_b64 v77, v[10:11], v[13:14] offset0:70 offset1:205
	ds_store_2addr_b64 v74, v[2:3], v[54:55] offset0:12 offset1:147
	;; [unrolled: 1-line block ×14, first 2 shown]
	global_wb scope:SCOPE_SE
	s_wait_dscnt 0x0
	s_barrier_signal -1
	s_barrier_wait -1
	global_inv scope:SCOPE_SE
	s_and_saveexec_b32 s0, vcc_lo
	s_cbranch_execz .LBB0_21
; %bb.20:
	v_mul_lo_u32 v0, s3, v64
	v_mul_lo_u32 v1, s2, v65
	v_mad_co_u64_u32 v[4:5], null, s2, v64, 0
	v_lshl_add_u32 v10, v60, 3, 0
	v_mov_b32_e32 v61, v12
	v_lshlrev_b64_e32 v[8:9], 3, v[62:63]
	v_add_nc_u32_e32 v11, 0x87, v60
	s_delay_alu instid0(VALU_DEP_4)
	v_add_nc_u32_e32 v6, 0x800, v10
	v_add3_u32 v5, v5, v1, v0
	v_lshlrev_b64_e32 v[15:16], 3, v[60:61]
	ds_load_2addr_b64 v[0:3], v10 offset1:135
	v_lshlrev_b64_e32 v[17:18], 3, v[11:12]
	v_add_nc_u32_e32 v11, 0x10e, v60
	v_lshlrev_b64_e32 v[13:14], 3, v[4:5]
	ds_load_2addr_b64 v[4:7], v6 offset0:14 offset1:149
	v_add_nc_u32_e32 v21, 0x1000, v10
	v_add_co_u32 v19, vcc_lo, s6, v13
	s_wait_alu 0xfffd
	v_add_co_ci_u32_e32 v20, vcc_lo, s7, v14, vcc_lo
	v_lshlrev_b64_e32 v[13:14], 3, v[11:12]
	s_delay_alu instid0(VALU_DEP_3) | instskip(SKIP_1) | instid1(VALU_DEP_3)
	v_add_co_u32 v25, vcc_lo, v19, v8
	s_wait_alu 0xfffd
	v_add_co_ci_u32_e32 v26, vcc_lo, v20, v9, vcc_lo
	v_add_nc_u32_e32 v11, 0x195, v60
	s_delay_alu instid0(VALU_DEP_3) | instskip(SKIP_1) | instid1(VALU_DEP_3)
	v_add_co_u32 v8, vcc_lo, v25, v15
	s_wait_alu 0xfffd
	v_add_co_ci_u32_e32 v9, vcc_lo, v26, v16, vcc_lo
	v_add_co_u32 v15, vcc_lo, v25, v17
	s_wait_alu 0xfffd
	v_add_co_ci_u32_e32 v16, vcc_lo, v26, v18, vcc_lo
	v_lshlrev_b64_e32 v[17:18], 3, v[11:12]
	v_add_co_u32 v13, vcc_lo, v25, v13
	v_add_nc_u32_e32 v11, 0x21c, v60
	s_wait_alu 0xfffd
	v_add_co_ci_u32_e32 v14, vcc_lo, v26, v14, vcc_lo
	s_delay_alu instid0(VALU_DEP_4)
	v_add_co_u32 v17, vcc_lo, v25, v17
	s_wait_alu 0xfffd
	v_add_co_ci_u32_e32 v18, vcc_lo, v26, v18, vcc_lo
	v_lshlrev_b64_e32 v[19:20], 3, v[11:12]
	v_add_nc_u32_e32 v11, 0x2a3, v60
	s_wait_dscnt 0x1
	s_clause 0x1
	global_store_b64 v[8:9], v[0:1], off
	global_store_b64 v[15:16], v[2:3], off
	s_wait_dscnt 0x0
	s_clause 0x1
	global_store_b64 v[13:14], v[4:5], off
	global_store_b64 v[17:18], v[6:7], off
	v_add_nc_u32_e32 v4, 0x1800, v10
	ds_load_2addr_b64 v[0:3], v21 offset0:28 offset1:163
	v_add_nc_u32_e32 v21, 0x2000, v10
	v_lshlrev_b64_e32 v[8:9], 3, v[11:12]
	v_add_nc_u32_e32 v11, 0x32a, v60
	ds_load_2addr_b64 v[4:7], v4 offset0:42 offset1:177
	v_add_co_u32 v13, vcc_lo, v25, v19
	s_wait_alu 0xfffd
	v_add_co_ci_u32_e32 v14, vcc_lo, v26, v20, vcc_lo
	v_lshlrev_b64_e32 v[15:16], 3, v[11:12]
	v_add_nc_u32_e32 v11, 0x3b1, v60
	v_add_co_u32 v8, vcc_lo, v25, v8
	s_wait_alu 0xfffd
	v_add_co_ci_u32_e32 v9, vcc_lo, v26, v9, vcc_lo
	s_delay_alu instid0(VALU_DEP_3) | instskip(SKIP_4) | instid1(VALU_DEP_4)
	v_lshlrev_b64_e32 v[17:18], 3, v[11:12]
	v_add_co_u32 v15, vcc_lo, v25, v15
	v_add_nc_u32_e32 v11, 0x438, v60
	s_wait_alu 0xfffd
	v_add_co_ci_u32_e32 v16, vcc_lo, v26, v16, vcc_lo
	v_add_co_u32 v17, vcc_lo, v25, v17
	s_wait_alu 0xfffd
	v_add_co_ci_u32_e32 v18, vcc_lo, v26, v18, vcc_lo
	v_lshlrev_b64_e32 v[19:20], 3, v[11:12]
	v_add_nc_u32_e32 v11, 0x4bf, v60
	s_wait_dscnt 0x1
	s_clause 0x1
	global_store_b64 v[13:14], v[0:1], off
	global_store_b64 v[8:9], v[2:3], off
	s_wait_dscnt 0x0
	s_clause 0x1
	global_store_b64 v[15:16], v[4:5], off
	global_store_b64 v[17:18], v[6:7], off
	v_add_nc_u32_e32 v4, 0x2800, v10
	ds_load_2addr_b64 v[0:3], v21 offset0:56 offset1:191
	v_add_nc_u32_e32 v21, 0x3000, v10
	v_lshlrev_b64_e32 v[8:9], 3, v[11:12]
	v_add_nc_u32_e32 v11, 0x546, v60
	ds_load_2addr_b64 v[4:7], v4 offset0:70 offset1:205
	v_add_co_u32 v13, vcc_lo, v25, v19
	s_wait_alu 0xfffd
	v_add_co_ci_u32_e32 v14, vcc_lo, v26, v20, vcc_lo
	v_lshlrev_b64_e32 v[15:16], 3, v[11:12]
	v_add_nc_u32_e32 v11, 0x5cd, v60
	v_add_co_u32 v8, vcc_lo, v25, v8
	s_wait_alu 0xfffd
	v_add_co_ci_u32_e32 v9, vcc_lo, v26, v9, vcc_lo
	s_delay_alu instid0(VALU_DEP_3) | instskip(SKIP_4) | instid1(VALU_DEP_4)
	v_lshlrev_b64_e32 v[17:18], 3, v[11:12]
	v_add_co_u32 v15, vcc_lo, v25, v15
	v_add_nc_u32_e32 v11, 0x654, v60
	s_wait_alu 0xfffd
	v_add_co_ci_u32_e32 v16, vcc_lo, v26, v16, vcc_lo
	;; [unrolled: 33-line block ×4, first 2 shown]
	v_add_co_u32 v17, vcc_lo, v25, v17
	s_wait_alu 0xfffd
	v_add_co_ci_u32_e32 v18, vcc_lo, v26, v18, vcc_lo
	v_lshlrev_b64_e32 v[19:20], 3, v[11:12]
	v_add_nc_u32_e32 v11, 0xb13, v60
	s_wait_dscnt 0x1
	s_clause 0x1
	global_store_b64 v[13:14], v[0:1], off
	global_store_b64 v[8:9], v[2:3], off
	s_wait_dscnt 0x0
	s_clause 0x1
	global_store_b64 v[15:16], v[4:5], off
	global_store_b64 v[17:18], v[6:7], off
	v_add_nc_u32_e32 v4, 0x5c00, v10
	ds_load_2addr_b64 v[0:3], v21 offset0:12 offset1:147
	v_add_nc_u32_e32 v21, 0x6400, v10
	v_lshlrev_b64_e32 v[8:9], 3, v[11:12]
	v_add_nc_u32_e32 v11, 0xb9a, v60
	ds_load_2addr_b64 v[4:7], v4 offset0:26 offset1:161
	v_add_co_u32 v13, vcc_lo, v25, v19
	s_wait_alu 0xfffd
	v_add_co_ci_u32_e32 v14, vcc_lo, v26, v20, vcc_lo
	v_lshlrev_b64_e32 v[15:16], 3, v[11:12]
	v_add_nc_u32_e32 v11, 0xc21, v60
	v_add_co_u32 v8, vcc_lo, v25, v8
	s_wait_alu 0xfffd
	v_add_co_ci_u32_e32 v9, vcc_lo, v26, v9, vcc_lo
	s_delay_alu instid0(VALU_DEP_3) | instskip(SKIP_4) | instid1(VALU_DEP_3)
	v_lshlrev_b64_e32 v[17:18], 3, v[11:12]
	v_add_nc_u32_e32 v11, 0xca8, v60
	v_add_co_u32 v15, vcc_lo, v25, v15
	s_wait_alu 0xfffd
	v_add_co_ci_u32_e32 v16, vcc_lo, v26, v16, vcc_lo
	v_lshlrev_b64_e32 v[19:20], 3, v[11:12]
	v_add_nc_u32_e32 v11, 0xd2f, v60
	v_add_co_u32 v17, vcc_lo, v25, v17
	s_wait_alu 0xfffd
	v_add_co_ci_u32_e32 v18, vcc_lo, v26, v18, vcc_lo
	s_wait_dscnt 0x1
	s_clause 0x1
	global_store_b64 v[13:14], v[0:1], off
	global_store_b64 v[8:9], v[2:3], off
	s_wait_dscnt 0x0
	s_clause 0x1
	global_store_b64 v[15:16], v[4:5], off
	global_store_b64 v[17:18], v[6:7], off
	v_lshlrev_b64_e32 v[4:5], 3, v[11:12]
	v_add_nc_u32_e32 v11, 0xdb6, v60
	v_add_co_u32 v8, vcc_lo, v25, v19
	v_add_nc_u32_e32 v6, 0x6c00, v10
	s_wait_alu 0xfffd
	v_add_co_ci_u32_e32 v9, vcc_lo, v26, v20, vcc_lo
	v_lshlrev_b64_e32 v[13:14], 3, v[11:12]
	v_add_nc_u32_e32 v11, 0xe3d, v60
	v_add_co_u32 v17, vcc_lo, v25, v4
	v_add_nc_u32_e32 v10, 0x7400, v10
	ds_load_2addr_b64 v[0:3], v21 offset0:40 offset1:175
	s_wait_alu 0xfffd
	v_add_co_ci_u32_e32 v18, vcc_lo, v26, v5, vcc_lo
	ds_load_2addr_b64 v[4:7], v6 offset0:54 offset1:189
	v_lshlrev_b64_e32 v[19:20], 3, v[11:12]
	v_add_nc_u32_e32 v11, 0xec4, v60
	v_add_co_u32 v21, vcc_lo, v25, v13
	s_wait_alu 0xfffd
	v_add_co_ci_u32_e32 v22, vcc_lo, v26, v14, vcc_lo
	ds_load_2addr_b64 v[13:16], v10 offset0:68 offset1:203
	v_lshlrev_b64_e32 v[23:24], 3, v[11:12]
	v_add_nc_u32_e32 v11, 0xf4b, v60
	v_add_co_u32 v19, vcc_lo, v25, v19
	s_wait_alu 0xfffd
	v_add_co_ci_u32_e32 v20, vcc_lo, v26, v20, vcc_lo
	s_delay_alu instid0(VALU_DEP_3) | instskip(SKIP_3) | instid1(VALU_DEP_3)
	v_lshlrev_b64_e32 v[10:11], 3, v[11:12]
	v_add_co_u32 v23, vcc_lo, v25, v23
	s_wait_alu 0xfffd
	v_add_co_ci_u32_e32 v24, vcc_lo, v26, v24, vcc_lo
	v_add_co_u32 v10, vcc_lo, v25, v10
	s_wait_alu 0xfffd
	v_add_co_ci_u32_e32 v11, vcc_lo, v26, v11, vcc_lo
	s_wait_dscnt 0x2
	s_clause 0x1
	global_store_b64 v[8:9], v[0:1], off
	global_store_b64 v[17:18], v[2:3], off
	s_wait_dscnt 0x1
	s_clause 0x1
	global_store_b64 v[21:22], v[4:5], off
	global_store_b64 v[19:20], v[6:7], off
	;; [unrolled: 4-line block ×3, first 2 shown]
.LBB0_21:
	s_nop 0
	s_sendmsg sendmsg(MSG_DEALLOC_VGPRS)
	s_endpgm
	.section	.rodata,"a",@progbits
	.p2align	6, 0x0
	.amdhsa_kernel fft_rtc_back_len4050_factors_10_5_3_3_3_3_wgs_135_tpt_135_halfLds_sp_op_CI_CI_unitstride_sbrr_C2R_dirReg
		.amdhsa_group_segment_fixed_size 0
		.amdhsa_private_segment_fixed_size 0
		.amdhsa_kernarg_size 104
		.amdhsa_user_sgpr_count 2
		.amdhsa_user_sgpr_dispatch_ptr 0
		.amdhsa_user_sgpr_queue_ptr 0
		.amdhsa_user_sgpr_kernarg_segment_ptr 1
		.amdhsa_user_sgpr_dispatch_id 0
		.amdhsa_user_sgpr_private_segment_size 0
		.amdhsa_wavefront_size32 1
		.amdhsa_uses_dynamic_stack 0
		.amdhsa_enable_private_segment 0
		.amdhsa_system_sgpr_workgroup_id_x 1
		.amdhsa_system_sgpr_workgroup_id_y 0
		.amdhsa_system_sgpr_workgroup_id_z 0
		.amdhsa_system_sgpr_workgroup_info 0
		.amdhsa_system_vgpr_workitem_id 0
		.amdhsa_next_free_vgpr 183
		.amdhsa_next_free_sgpr 39
		.amdhsa_reserve_vcc 1
		.amdhsa_float_round_mode_32 0
		.amdhsa_float_round_mode_16_64 0
		.amdhsa_float_denorm_mode_32 3
		.amdhsa_float_denorm_mode_16_64 3
		.amdhsa_fp16_overflow 0
		.amdhsa_workgroup_processor_mode 1
		.amdhsa_memory_ordered 1
		.amdhsa_forward_progress 0
		.amdhsa_round_robin_scheduling 0
		.amdhsa_exception_fp_ieee_invalid_op 0
		.amdhsa_exception_fp_denorm_src 0
		.amdhsa_exception_fp_ieee_div_zero 0
		.amdhsa_exception_fp_ieee_overflow 0
		.amdhsa_exception_fp_ieee_underflow 0
		.amdhsa_exception_fp_ieee_inexact 0
		.amdhsa_exception_int_div_zero 0
	.end_amdhsa_kernel
	.text
.Lfunc_end0:
	.size	fft_rtc_back_len4050_factors_10_5_3_3_3_3_wgs_135_tpt_135_halfLds_sp_op_CI_CI_unitstride_sbrr_C2R_dirReg, .Lfunc_end0-fft_rtc_back_len4050_factors_10_5_3_3_3_3_wgs_135_tpt_135_halfLds_sp_op_CI_CI_unitstride_sbrr_C2R_dirReg
                                        ; -- End function
	.section	.AMDGPU.csdata,"",@progbits
; Kernel info:
; codeLenInByte = 21800
; NumSgprs: 41
; NumVgprs: 183
; ScratchSize: 0
; MemoryBound: 0
; FloatMode: 240
; IeeeMode: 1
; LDSByteSize: 0 bytes/workgroup (compile time only)
; SGPRBlocks: 5
; VGPRBlocks: 22
; NumSGPRsForWavesPerEU: 41
; NumVGPRsForWavesPerEU: 183
; Occupancy: 8
; WaveLimiterHint : 1
; COMPUTE_PGM_RSRC2:SCRATCH_EN: 0
; COMPUTE_PGM_RSRC2:USER_SGPR: 2
; COMPUTE_PGM_RSRC2:TRAP_HANDLER: 0
; COMPUTE_PGM_RSRC2:TGID_X_EN: 1
; COMPUTE_PGM_RSRC2:TGID_Y_EN: 0
; COMPUTE_PGM_RSRC2:TGID_Z_EN: 0
; COMPUTE_PGM_RSRC2:TIDIG_COMP_CNT: 0
	.text
	.p2alignl 7, 3214868480
	.fill 96, 4, 3214868480
	.type	__hip_cuid_5520719fad6ed705,@object ; @__hip_cuid_5520719fad6ed705
	.section	.bss,"aw",@nobits
	.globl	__hip_cuid_5520719fad6ed705
__hip_cuid_5520719fad6ed705:
	.byte	0                               ; 0x0
	.size	__hip_cuid_5520719fad6ed705, 1

	.ident	"AMD clang version 19.0.0git (https://github.com/RadeonOpenCompute/llvm-project roc-6.4.0 25133 c7fe45cf4b819c5991fe208aaa96edf142730f1d)"
	.section	".note.GNU-stack","",@progbits
	.addrsig
	.addrsig_sym __hip_cuid_5520719fad6ed705
	.amdgpu_metadata
---
amdhsa.kernels:
  - .args:
      - .actual_access:  read_only
        .address_space:  global
        .offset:         0
        .size:           8
        .value_kind:     global_buffer
      - .offset:         8
        .size:           8
        .value_kind:     by_value
      - .actual_access:  read_only
        .address_space:  global
        .offset:         16
        .size:           8
        .value_kind:     global_buffer
      - .actual_access:  read_only
        .address_space:  global
        .offset:         24
        .size:           8
        .value_kind:     global_buffer
      - .actual_access:  read_only
        .address_space:  global
        .offset:         32
        .size:           8
        .value_kind:     global_buffer
      - .offset:         40
        .size:           8
        .value_kind:     by_value
      - .actual_access:  read_only
        .address_space:  global
        .offset:         48
        .size:           8
        .value_kind:     global_buffer
      - .actual_access:  read_only
        .address_space:  global
        .offset:         56
        .size:           8
        .value_kind:     global_buffer
      - .offset:         64
        .size:           4
        .value_kind:     by_value
      - .actual_access:  read_only
        .address_space:  global
        .offset:         72
        .size:           8
        .value_kind:     global_buffer
      - .actual_access:  read_only
        .address_space:  global
        .offset:         80
        .size:           8
        .value_kind:     global_buffer
      - .actual_access:  read_only
        .address_space:  global
        .offset:         88
        .size:           8
        .value_kind:     global_buffer
      - .actual_access:  write_only
        .address_space:  global
        .offset:         96
        .size:           8
        .value_kind:     global_buffer
    .group_segment_fixed_size: 0
    .kernarg_segment_align: 8
    .kernarg_segment_size: 104
    .language:       OpenCL C
    .language_version:
      - 2
      - 0
    .max_flat_workgroup_size: 135
    .name:           fft_rtc_back_len4050_factors_10_5_3_3_3_3_wgs_135_tpt_135_halfLds_sp_op_CI_CI_unitstride_sbrr_C2R_dirReg
    .private_segment_fixed_size: 0
    .sgpr_count:     41
    .sgpr_spill_count: 0
    .symbol:         fft_rtc_back_len4050_factors_10_5_3_3_3_3_wgs_135_tpt_135_halfLds_sp_op_CI_CI_unitstride_sbrr_C2R_dirReg.kd
    .uniform_work_group_size: 1
    .uses_dynamic_stack: false
    .vgpr_count:     183
    .vgpr_spill_count: 0
    .wavefront_size: 32
    .workgroup_processor_mode: 1
amdhsa.target:   amdgcn-amd-amdhsa--gfx1201
amdhsa.version:
  - 1
  - 2
...

	.end_amdgpu_metadata
